;; amdgpu-corpus repo=ROCm/rocSPARSE kind=compiled arch=gfx906 opt=O3
	.amdgcn_target "amdgcn-amd-amdhsa--gfx906"
	.amdhsa_code_object_version 6
	.section	.text._ZN9rocsparseL36gtsv_interleaved_batch_thomas_kernelILj128EfEEviiiPKT0_S3_S3_PS1_S4_S4_,"axG",@progbits,_ZN9rocsparseL36gtsv_interleaved_batch_thomas_kernelILj128EfEEviiiPKT0_S3_S3_PS1_S4_S4_,comdat
	.globl	_ZN9rocsparseL36gtsv_interleaved_batch_thomas_kernelILj128EfEEviiiPKT0_S3_S3_PS1_S4_S4_ ; -- Begin function _ZN9rocsparseL36gtsv_interleaved_batch_thomas_kernelILj128EfEEviiiPKT0_S3_S3_PS1_S4_S4_
	.p2align	8
	.type	_ZN9rocsparseL36gtsv_interleaved_batch_thomas_kernelILj128EfEEviiiPKT0_S3_S3_PS1_S4_S4_,@function
_ZN9rocsparseL36gtsv_interleaved_batch_thomas_kernelILj128EfEEviiiPKT0_S3_S3_PS1_S4_S4_: ; @_ZN9rocsparseL36gtsv_interleaved_batch_thomas_kernelILj128EfEEviiiPKT0_S3_S3_PS1_S4_S4_
; %bb.0:
	s_load_dwordx4 s[16:19], s[4:5], 0x0
	s_lshl_b32 s22, s6, 7
	v_or_b32_e32 v1, s22, v0
	s_waitcnt lgkmcnt(0)
	v_cmp_gt_i32_e32 vcc, s17, v1
	s_and_saveexec_b64 s[0:1], vcc
	s_cbranch_execz .LBB0_9
; %bb.1:
	s_load_dwordx8 s[8:15], s[4:5], 0x18
	s_load_dwordx2 s[2:3], s[4:5], 0x38
	v_ashrrev_i32_e32 v2, 31, v1
	v_lshlrev_b64 v[8:9], 2, v[1:2]
	s_cmp_gt_i32 s16, 1
	s_waitcnt lgkmcnt(0)
	v_mov_b32_e32 v2, s11
	v_add_co_u32_e32 v1, vcc, s10, v8
	v_addc_co_u32_e32 v2, vcc, v2, v9, vcc
	global_load_dword v7, v[1:2], off
	v_mov_b32_e32 v2, s9
	v_add_co_u32_e32 v1, vcc, s8, v8
	v_addc_co_u32_e32 v2, vcc, v2, v9, vcc
	global_load_dword v10, v[1:2], off
	;; [unrolled: 4-line block ×3, first 2 shown]
	s_cselect_b64 s[6:7], -1, 0
	s_waitcnt vmcnt(1)
	v_div_scale_f32 v3, s[0:1], v10, v10, v7
	v_div_scale_f32 v5, vcc, v7, v10, v7
	s_waitcnt vmcnt(0)
	v_div_scale_f32 v4, s[0:1], v10, v10, v11
	v_div_scale_f32 v6, s[0:1], v11, v10, v11
	v_rcp_f32_e32 v12, v3
	v_fma_f32 v14, -v3, v12, 1.0
	v_fmac_f32_e32 v12, v14, v12
	v_rcp_f32_e32 v13, v4
	v_mul_f32_e32 v14, v5, v12
	v_fma_f32 v16, -v3, v14, v5
	v_fmac_f32_e32 v14, v16, v12
	v_fma_f32 v15, -v4, v13, 1.0
	v_fmac_f32_e32 v13, v15, v13
	v_mul_f32_e32 v15, v6, v13
	v_fma_f32 v17, -v4, v15, v6
	v_fmac_f32_e32 v15, v17, v13
	v_fma_f32 v3, -v3, v14, v5
	v_fma_f32 v4, -v4, v15, v6
	v_div_fmas_f32 v12, v3, v12, v14
	s_mov_b64 vcc, s[0:1]
	v_div_fmas_f32 v13, v4, v13, v15
	v_mov_b32_e32 v4, s13
	v_add_co_u32_e64 v3, s[0:1], s12, v8
	v_addc_co_u32_e64 v4, s[0:1], v4, v9, s[0:1]
	v_mov_b32_e32 v6, s15
	v_add_co_u32_e64 v5, s[0:1], s14, v8
	s_and_b64 vcc, exec, s[6:7]
	v_addc_co_u32_e64 v6, s[0:1], v6, v9, s[0:1]
	v_div_fixup_f32 v7, v12, v10, v7
	global_store_dword v[3:4], v7, off
	v_div_fixup_f32 v7, v13, v10, v11
	global_store_dword v[5:6], v7, off
	s_cbranch_vccnz .LBB0_3
; %bb.2:
	s_add_i32 s26, s16, -1
	s_cbranch_execz .LBB0_4
	s_branch .LBB0_6
.LBB0_3:
                                        ; implicit-def: $sgpr26
.LBB0_4:
	s_load_dwordx2 s[4:5], s[4:5], 0x10
	s_ashr_i32 s19, s18, 31
	s_lshl_b64 s[20:21], s[18:19], 2
	v_mov_b32_e32 v10, s21
	v_add_co_u32_e32 v11, vcc, s20, v8
	s_add_i32 s22, s22, s18
	s_ashr_i32 s1, s17, 31
	s_mov_b32 s0, s17
	v_addc_co_u32_e32 v12, vcc, v10, v9, vcc
	v_add_u32_e32 v7, s22, v0
	s_lshl_b64 s[22:23], s[0:1], 2
	s_add_i32 s26, s16, -1
	v_mov_b32_e32 v0, s23
	v_add_co_u32_e32 v13, vcc, s22, v8
	v_addc_co_u32_e32 v9, vcc, v0, v9, vcc
	s_mov_b32 s24, 0
	v_mov_b32_e32 v14, s11
	v_mov_b32_e32 v15, s9
	s_waitcnt lgkmcnt(0)
	v_mov_b32_e32 v16, s5
	v_mov_b32_e32 v17, s3
	;; [unrolled: 1-line block ×4, first 2 shown]
	s_mov_b32 s3, s26
.LBB0_5:                                ; =>This Inner Loop Header: Depth=1
	v_ashrrev_i32_e32 v8, 31, v7
	v_add_co_u32_e32 v20, vcc, s10, v11
	v_addc_co_u32_e32 v21, vcc, v14, v12, vcc
	v_lshlrev_b64 v[24:25], 2, v[7:8]
	v_add_co_u32_e32 v22, vcc, s8, v11
	s_ashr_i32 s25, s24, 31
	v_addc_co_u32_e32 v23, vcc, v15, v12, vcc
	s_lshl_b64 s[28:29], s[24:25], 2
	v_add_co_u32_e64 v24, s[0:1], s4, v24
	global_load_dword v8, v[22:23], off
	v_mov_b32_e32 v26, s29
	v_add_co_u32_e32 v22, vcc, s28, v3
	v_addc_co_u32_e64 v25, s[0:1], v16, v25, s[0:1]
	v_addc_co_u32_e32 v23, vcc, v4, v26, vcc
	global_load_dword v27, v[24:25], off
	global_load_dword v28, v[22:23], off
	;; [unrolled: 1-line block ×3, first 2 shown]
	s_add_i32 s3, s3, -1
	s_add_i32 s24, s24, s17
	v_add_u32_e32 v7, s18, v7
	s_cmp_eq_u32 s3, 0
	s_waitcnt vmcnt(1)
	v_fma_f32 v24, -v27, v28, v8
	s_waitcnt vmcnt(0)
	v_div_scale_f32 v20, s[0:1], v24, v24, v29
	v_rcp_f32_e32 v21, v20
	v_fma_f32 v25, -v20, v21, 1.0
	v_fmac_f32_e32 v21, v25, v21
	v_div_scale_f32 v25, vcc, v29, v24, v29
	v_mul_f32_e32 v28, v25, v21
	v_fma_f32 v30, -v20, v28, v25
	v_fmac_f32_e32 v28, v30, v21
	v_fma_f32 v20, -v20, v28, v25
	v_div_fmas_f32 v25, v20, v21, v28
	v_add_co_u32_e32 v20, vcc, s2, v11
	v_addc_co_u32_e32 v21, vcc, v17, v12, vcc
	global_load_dword v28, v[20:21], off
	v_add_co_u32_e32 v20, vcc, s28, v5
	v_addc_co_u32_e32 v21, vcc, v6, v26, vcc
	global_load_dword v20, v[20:21], off
	v_div_fixup_f32 v26, v25, v24, v29
	v_add_co_u32_e32 v24, vcc, s12, v13
	v_addc_co_u32_e32 v25, vcc, v18, v9, vcc
	global_store_dword v[24:25], v26, off
	global_load_dword v21, v[22:23], off
	s_waitcnt vmcnt(2)
	v_fma_f32 v22, -v27, v20, v28
	s_waitcnt vmcnt(0)
	v_fma_f32 v8, -v27, v21, v8
	v_div_scale_f32 v20, s[0:1], v8, v8, v22
	v_div_scale_f32 v21, vcc, v22, v8, v22
	v_rcp_f32_e32 v23, v20
	v_fma_f32 v24, -v20, v23, 1.0
	v_fmac_f32_e32 v23, v24, v23
	v_mul_f32_e32 v24, v21, v23
	v_fma_f32 v25, -v20, v24, v21
	v_fmac_f32_e32 v24, v25, v23
	v_fma_f32 v20, -v20, v24, v21
	v_div_fmas_f32 v23, v20, v23, v24
	v_add_co_u32_e32 v20, vcc, s14, v13
	v_addc_co_u32_e32 v21, vcc, v19, v9, vcc
	v_add_co_u32_e32 v11, vcc, s20, v11
	v_addc_co_u32_e32 v12, vcc, v12, v10, vcc
	;; [unrolled: 2-line block ×3, first 2 shown]
	v_div_fixup_f32 v8, v23, v8, v22
	global_store_dword v[20:21], v8, off
	s_cbranch_scc0 .LBB0_5
.LBB0_6:
	s_mul_i32 s0, s17, s26
	s_ashr_i32 s1, s0, 31
	s_lshl_b64 s[0:1], s[0:1], 2
	v_mov_b32_e32 v0, s1
	v_add_co_u32_e32 v7, vcc, s0, v5
	v_addc_co_u32_e32 v8, vcc, v6, v0, vcc
	global_load_dword v0, v[7:8], off
	s_mul_i32 s2, s18, s26
	s_ashr_i32 s3, s2, 31
	s_lshl_b64 s[0:1], s[2:3], 2
	v_mov_b32_e32 v8, s1
	v_add_co_u32_e32 v7, vcc, s0, v1
	v_addc_co_u32_e32 v8, vcc, v2, v8, vcc
	s_andn2_b64 vcc, exec, s[6:7]
	s_waitcnt vmcnt(0)
	global_store_dword v[7:8], v0, off
	s_cbranch_vccnz .LBB0_9
; %bb.7:
	s_add_i32 s0, s16, -2
	s_mul_i32 s3, s18, s0
	s_mul_i32 s4, s17, s0
	s_mov_b32 s6, 0
.LBB0_8:                                ; =>This Inner Loop Header: Depth=1
	s_ashr_i32 s5, s4, 31
	s_add_i32 s0, s2, s6
	s_lshl_b64 s[8:9], s[4:5], 2
	s_ashr_i32 s1, s0, 31
	v_mov_b32_e32 v0, s9
	v_add_co_u32_e32 v7, vcc, s8, v3
	s_lshl_b64 s[10:11], s[0:1], 2
	v_add_co_u32_e64 v9, s[0:1], s8, v5
	v_addc_co_u32_e32 v8, vcc, v4, v0, vcc
	v_addc_co_u32_e64 v10, s[0:1], v6, v0, s[0:1]
	v_mov_b32_e32 v0, s11
	v_add_co_u32_e32 v11, vcc, s10, v1
	v_addc_co_u32_e32 v12, vcc, v2, v0, vcc
	global_load_dword v13, v[9:10], off
	global_load_dword v14, v[7:8], off
	;; [unrolled: 1-line block ×3, first 2 shown]
	s_add_i32 s0, s3, s6
	s_ashr_i32 s1, s0, 31
	s_lshl_b64 s[0:1], s[0:1], 2
	s_add_i32 s26, s26, -1
	s_sub_i32 s6, s6, s18
	s_sub_i32 s4, s4, s17
	v_mov_b32_e32 v8, s1
	v_add_co_u32_e32 v7, vcc, s0, v1
	s_cmp_lg_u32 s26, 0
	v_addc_co_u32_e32 v8, vcc, v2, v8, vcc
	s_waitcnt vmcnt(0)
	v_fma_f32 v0, -v14, v0, v13
	global_store_dword v[7:8], v0, off
	s_cbranch_scc1 .LBB0_8
.LBB0_9:
	s_endpgm
	.section	.rodata,"a",@progbits
	.p2align	6, 0x0
	.amdhsa_kernel _ZN9rocsparseL36gtsv_interleaved_batch_thomas_kernelILj128EfEEviiiPKT0_S3_S3_PS1_S4_S4_
		.amdhsa_group_segment_fixed_size 0
		.amdhsa_private_segment_fixed_size 0
		.amdhsa_kernarg_size 64
		.amdhsa_user_sgpr_count 6
		.amdhsa_user_sgpr_private_segment_buffer 1
		.amdhsa_user_sgpr_dispatch_ptr 0
		.amdhsa_user_sgpr_queue_ptr 0
		.amdhsa_user_sgpr_kernarg_segment_ptr 1
		.amdhsa_user_sgpr_dispatch_id 0
		.amdhsa_user_sgpr_flat_scratch_init 0
		.amdhsa_user_sgpr_private_segment_size 0
		.amdhsa_uses_dynamic_stack 0
		.amdhsa_system_sgpr_private_segment_wavefront_offset 0
		.amdhsa_system_sgpr_workgroup_id_x 1
		.amdhsa_system_sgpr_workgroup_id_y 0
		.amdhsa_system_sgpr_workgroup_id_z 0
		.amdhsa_system_sgpr_workgroup_info 0
		.amdhsa_system_vgpr_workitem_id 0
		.amdhsa_next_free_vgpr 31
		.amdhsa_next_free_sgpr 30
		.amdhsa_reserve_vcc 1
		.amdhsa_reserve_flat_scratch 0
		.amdhsa_float_round_mode_32 0
		.amdhsa_float_round_mode_16_64 0
		.amdhsa_float_denorm_mode_32 3
		.amdhsa_float_denorm_mode_16_64 3
		.amdhsa_dx10_clamp 1
		.amdhsa_ieee_mode 1
		.amdhsa_fp16_overflow 0
		.amdhsa_exception_fp_ieee_invalid_op 0
		.amdhsa_exception_fp_denorm_src 0
		.amdhsa_exception_fp_ieee_div_zero 0
		.amdhsa_exception_fp_ieee_overflow 0
		.amdhsa_exception_fp_ieee_underflow 0
		.amdhsa_exception_fp_ieee_inexact 0
		.amdhsa_exception_int_div_zero 0
	.end_amdhsa_kernel
	.section	.text._ZN9rocsparseL36gtsv_interleaved_batch_thomas_kernelILj128EfEEviiiPKT0_S3_S3_PS1_S4_S4_,"axG",@progbits,_ZN9rocsparseL36gtsv_interleaved_batch_thomas_kernelILj128EfEEviiiPKT0_S3_S3_PS1_S4_S4_,comdat
.Lfunc_end0:
	.size	_ZN9rocsparseL36gtsv_interleaved_batch_thomas_kernelILj128EfEEviiiPKT0_S3_S3_PS1_S4_S4_, .Lfunc_end0-_ZN9rocsparseL36gtsv_interleaved_batch_thomas_kernelILj128EfEEviiiPKT0_S3_S3_PS1_S4_S4_
                                        ; -- End function
	.set _ZN9rocsparseL36gtsv_interleaved_batch_thomas_kernelILj128EfEEviiiPKT0_S3_S3_PS1_S4_S4_.num_vgpr, 31
	.set _ZN9rocsparseL36gtsv_interleaved_batch_thomas_kernelILj128EfEEviiiPKT0_S3_S3_PS1_S4_S4_.num_agpr, 0
	.set _ZN9rocsparseL36gtsv_interleaved_batch_thomas_kernelILj128EfEEviiiPKT0_S3_S3_PS1_S4_S4_.numbered_sgpr, 30
	.set _ZN9rocsparseL36gtsv_interleaved_batch_thomas_kernelILj128EfEEviiiPKT0_S3_S3_PS1_S4_S4_.num_named_barrier, 0
	.set _ZN9rocsparseL36gtsv_interleaved_batch_thomas_kernelILj128EfEEviiiPKT0_S3_S3_PS1_S4_S4_.private_seg_size, 0
	.set _ZN9rocsparseL36gtsv_interleaved_batch_thomas_kernelILj128EfEEviiiPKT0_S3_S3_PS1_S4_S4_.uses_vcc, 1
	.set _ZN9rocsparseL36gtsv_interleaved_batch_thomas_kernelILj128EfEEviiiPKT0_S3_S3_PS1_S4_S4_.uses_flat_scratch, 0
	.set _ZN9rocsparseL36gtsv_interleaved_batch_thomas_kernelILj128EfEEviiiPKT0_S3_S3_PS1_S4_S4_.has_dyn_sized_stack, 0
	.set _ZN9rocsparseL36gtsv_interleaved_batch_thomas_kernelILj128EfEEviiiPKT0_S3_S3_PS1_S4_S4_.has_recursion, 0
	.set _ZN9rocsparseL36gtsv_interleaved_batch_thomas_kernelILj128EfEEviiiPKT0_S3_S3_PS1_S4_S4_.has_indirect_call, 0
	.section	.AMDGPU.csdata,"",@progbits
; Kernel info:
; codeLenInByte = 1096
; TotalNumSgprs: 34
; NumVgprs: 31
; ScratchSize: 0
; MemoryBound: 0
; FloatMode: 240
; IeeeMode: 1
; LDSByteSize: 0 bytes/workgroup (compile time only)
; SGPRBlocks: 4
; VGPRBlocks: 7
; NumSGPRsForWavesPerEU: 34
; NumVGPRsForWavesPerEU: 31
; Occupancy: 8
; WaveLimiterHint : 0
; COMPUTE_PGM_RSRC2:SCRATCH_EN: 0
; COMPUTE_PGM_RSRC2:USER_SGPR: 6
; COMPUTE_PGM_RSRC2:TRAP_HANDLER: 0
; COMPUTE_PGM_RSRC2:TGID_X_EN: 1
; COMPUTE_PGM_RSRC2:TGID_Y_EN: 0
; COMPUTE_PGM_RSRC2:TGID_Z_EN: 0
; COMPUTE_PGM_RSRC2:TIDIG_COMP_CNT: 0
	.section	.text._ZN9rocsparseL32gtsv_interleaved_batch_lu_kernelILj128EfEEviiiPT0_S2_S2_S2_PiS2_,"axG",@progbits,_ZN9rocsparseL32gtsv_interleaved_batch_lu_kernelILj128EfEEviiiPT0_S2_S2_S2_PiS2_,comdat
	.globl	_ZN9rocsparseL32gtsv_interleaved_batch_lu_kernelILj128EfEEviiiPT0_S2_S2_S2_PiS2_ ; -- Begin function _ZN9rocsparseL32gtsv_interleaved_batch_lu_kernelILj128EfEEviiiPT0_S2_S2_S2_PiS2_
	.p2align	8
	.type	_ZN9rocsparseL32gtsv_interleaved_batch_lu_kernelILj128EfEEviiiPT0_S2_S2_S2_PiS2_,@function
_ZN9rocsparseL32gtsv_interleaved_batch_lu_kernelILj128EfEEviiiPT0_S2_S2_S2_PiS2_: ; @_ZN9rocsparseL32gtsv_interleaved_batch_lu_kernelILj128EfEEviiiPT0_S2_S2_S2_PiS2_
; %bb.0:
	s_load_dwordx4 s[0:3], s[4:5], 0x0
	s_waitcnt lgkmcnt(0)
	s_lshl_b32 s3, s6, 7
	v_or_b32_e32 v1, s3, v0
	v_cmp_gt_i32_e32 vcc, s1, v1
	s_and_saveexec_b64 s[6:7], vcc
	s_cbranch_execz .LBB1_19
; %bb.1:
	s_load_dwordx8 s[8:15], s[4:5], 0x18
	s_load_dwordx2 s[6:7], s[4:5], 0x38
	v_ashrrev_i32_e32 v2, 31, v1
	v_lshlrev_b64 v[2:3], 2, v[1:2]
	s_add_i32 s20, s0, -1
	s_waitcnt lgkmcnt(0)
	v_mov_b32_e32 v4, s15
	v_add_co_u32_e32 v2, vcc, s14, v2
	v_addc_co_u32_e32 v3, vcc, v4, v3, vcc
	v_mov_b32_e32 v4, 0
	s_cmp_lt_i32 s0, 2
	global_store_dword v[2:3], v4, off
	s_cbranch_scc1 .LBB1_16
; %bb.2:
	s_load_dwordx2 s[4:5], s[4:5], 0x10
	s_mov_b32 s21, 0
	v_mov_b32_e32 v15, s9
	s_waitcnt lgkmcnt(0)
	v_mov_b32_e32 v14, s5
	s_branch .LBB1_4
.LBB1_3:                                ;   in Loop: Header=BB1_4 Depth=1
	s_or_b64 exec, exec, s[16:17]
	s_cmp_lg_u32 s21, s20
	s_cbranch_scc0 .LBB1_8
.LBB1_4:                                ; =>This Inner Loop Header: Depth=1
	s_mul_i32 s17, s21, s2
	v_add_u32_e32 v6, s17, v1
	v_add_u32_e32 v4, s2, v6
	v_ashrrev_i32_e32 v5, 31, v4
	v_lshlrev_b64 v[8:9], 2, v[4:5]
	v_ashrrev_i32_e32 v7, 31, v6
	v_add_co_u32_e32 v4, vcc, s4, v8
	v_lshlrev_b64 v[10:11], 2, v[6:7]
	v_addc_co_u32_e32 v5, vcc, v14, v9, vcc
	v_add_co_u32_e32 v6, vcc, s8, v10
	v_addc_co_u32_e32 v7, vcc, v15, v11, vcc
	global_load_dword v17, v[6:7], off
	global_load_dword v16, v[4:5], off
	s_mov_b32 s16, s21
	s_mul_i32 s18, s16, s1
	s_add_i32 s21, s21, 1
	v_add_u32_e32 v12, s18, v1
	s_waitcnt vmcnt(0)
	v_cmp_nlt_f32_e64 s[16:17], |v17|, |v16|
	s_and_saveexec_b64 s[22:23], s[16:17]
	s_xor_b64 s[16:17], exec, s[22:23]
	s_cbranch_execnz .LBB1_6
; %bb.5:                                ;   in Loop: Header=BB1_4 Depth=1
	s_andn2_saveexec_b64 s[16:17], s[16:17]
	s_cbranch_execz .LBB1_3
	s_branch .LBB1_7
.LBB1_6:                                ;   in Loop: Header=BB1_4 Depth=1
	v_mov_b32_e32 v7, s9
	v_add_co_u32_e32 v6, vcc, s8, v8
	v_addc_co_u32_e32 v7, vcc, v7, v9, vcc
	v_mov_b32_e32 v13, s11
	v_add_co_u32_e32 v10, vcc, s10, v10
	v_addc_co_u32_e32 v11, vcc, v13, v11, vcc
	v_add_co_u32_e32 v8, vcc, s10, v8
	v_addc_co_u32_e32 v9, vcc, v13, v9, vcc
	v_ashrrev_i32_e32 v13, 31, v12
	global_load_dword v18, v[6:7], off
	global_load_dword v19, v[10:11], off
	;; [unrolled: 1-line block ×3, first 2 shown]
	v_lshlrev_b64 v[10:11], 2, v[12:13]
	v_mov_b32_e32 v12, s13
	v_add_co_u32_e32 v10, vcc, s12, v10
	v_addc_co_u32_e32 v11, vcc, v12, v11, vcc
	global_load_dword v12, v[10:11], off
	v_div_scale_f32 v10, s[22:23], v17, v17, v16
	v_div_scale_f32 v11, vcc, v16, v17, v16
	s_mul_i32 s22, s21, s1
	s_ashr_i32 s23, s22, 31
	s_lshl_b64 s[22:23], s[22:23], 2
	v_rcp_f32_e32 v13, v10
	v_fma_f32 v21, -v10, v13, 1.0
	v_fmac_f32_e32 v13, v21, v13
	v_mul_f32_e32 v21, v11, v13
	v_fma_f32 v22, -v10, v21, v11
	v_fmac_f32_e32 v21, v22, v13
	v_fma_f32 v10, -v10, v21, v11
	v_div_fmas_f32 v13, v10, v13, v21
	v_mov_b32_e32 v11, s23
	v_add_co_u32_e32 v10, vcc, s22, v2
	v_addc_co_u32_e32 v11, vcc, v3, v11, vcc
	v_mov_b32_e32 v21, s21
	global_store_dword v[10:11], v21, off
	v_div_fixup_f32 v10, v13, v17, v16
	global_store_dword v[4:5], v10, off
                                        ; implicit-def: $vgpr16
                                        ; implicit-def: $vgpr17
	s_waitcnt vmcnt(4)
	v_fma_f32 v4, -v10, v19, v18
	global_store_dword v[6:7], v4, off
                                        ; implicit-def: $vgpr6_vgpr7
	s_waitcnt vmcnt(3)
	v_fma_f32 v4, -v10, v12, v20
	global_store_dword v[8:9], v4, off
                                        ; implicit-def: $vgpr8_vgpr9
                                        ; implicit-def: $vgpr10_vgpr11
                                        ; implicit-def: $vgpr12
                                        ; implicit-def: $vgpr4_vgpr5
	s_andn2_saveexec_b64 s[16:17], s[16:17]
	s_cbranch_execz .LBB1_3
.LBB1_7:                                ;   in Loop: Header=BB1_4 Depth=1
	v_ashrrev_i32_e32 v13, 31, v12
	v_lshlrev_b64 v[18:19], 2, v[12:13]
	v_mov_b32_e32 v13, s13
	v_add_co_u32_e32 v18, vcc, s12, v18
	s_ashr_i32 s19, s18, 31
	v_addc_co_u32_e32 v19, vcc, v13, v19, vcc
	s_lshl_b64 s[18:19], s[18:19], 2
	v_mov_b32_e32 v13, s19
	v_add_co_u32_e32 v20, vcc, s18, v2
	v_addc_co_u32_e32 v21, vcc, v3, v13, vcc
	v_mov_b32_e32 v13, s21
	v_add_u32_e32 v12, s1, v12
	global_load_dword v26, v[20:21], off
	v_mov_b32_e32 v22, s7
	global_store_dword v[20:21], v13, off
	v_ashrrev_i32_e32 v13, 31, v12
	v_lshlrev_b64 v[12:13], 2, v[12:13]
	v_mov_b32_e32 v20, s15
	v_add_co_u32_e32 v12, vcc, s14, v12
	v_addc_co_u32_e32 v13, vcc, v20, v13, vcc
	v_mov_b32_e32 v21, s11
	v_add_co_u32_e32 v20, vcc, s10, v10
	v_addc_co_u32_e32 v21, vcc, v21, v11, vcc
	v_add_co_u32_e32 v10, vcc, s6, v10
	v_addc_co_u32_e32 v11, vcc, v22, v11, vcc
	v_mov_b32_e32 v23, s9
	v_add_co_u32_e32 v22, vcc, s8, v8
	v_addc_co_u32_e32 v23, vcc, v23, v9, vcc
	v_mov_b32_e32 v25, s11
	;; [unrolled: 3-line block ×3, first 2 shown]
	v_add_co_u32_e32 v8, vcc, s6, v8
	v_addc_co_u32_e32 v9, vcc, v27, v9, vcc
	global_load_dword v27, v[8:9], off
	global_load_dword v28, v[10:11], off
	s_waitcnt vmcnt(1)
	global_store_dword v[10:11], v27, off
	v_div_scale_f32 v10, s[18:19], v16, v16, v17
	v_rcp_f32_e32 v11, v10
	v_fma_f32 v27, -v10, v11, 1.0
	v_fmac_f32_e32 v11, v27, v11
	v_div_scale_f32 v27, vcc, v17, v16, v17
	v_mul_f32_e32 v29, v27, v11
	v_fma_f32 v30, -v10, v29, v27
	v_fmac_f32_e32 v29, v30, v11
	v_fma_f32 v10, -v10, v29, v27
	v_div_fmas_f32 v10, v10, v11, v29
	global_load_dword v11, v[22:23], off
	s_nop 0
	global_store_dword v[6:7], v16, off
	v_div_fixup_f32 v6, v10, v16, v17
	global_store_dword v[4:5], v6, off
	global_load_dword v4, v[24:25], off
	s_nop 0
	global_load_dword v5, v[18:19], off
	global_load_dword v7, v[20:21], off
	s_waitcnt vmcnt(2)
	global_store_dword v[18:19], v4, off
	global_store_dword v[20:21], v11, off
	s_waitcnt vmcnt(3)
	global_store_dword v[24:25], v5, off
	global_load_dword v10, v[20:21], off
	v_fma_f32 v4, -v6, v4, v5
	global_store_dword v[8:9], v28, off
	global_store_dword v[12:13], v26, off
	s_waitcnt vmcnt(2)
	v_fma_f32 v5, -v6, v10, v7
	global_store_dword v[22:23], v5, off
	global_store_dword v[24:25], v4, off
	s_branch .LBB1_3
.LBB1_8:
	s_mov_b32 s21, 1
	v_mov_b32_e32 v4, 0
	s_branch .LBB1_11
.LBB1_9:                                ;   in Loop: Header=BB1_11 Depth=1
	s_or_b64 exec, exec, s[16:17]
	s_mul_i32 s16, s21, s2
	v_add_u32_e32 v6, s16, v1
	v_ashrrev_i32_e32 v7, 31, v6
	v_lshlrev_b64 v[6:7], 2, v[6:7]
	v_mov_b32_e32 v4, s7
	v_add_co_u32_e32 v6, vcc, s6, v6
	v_addc_co_u32_e32 v7, vcc, v4, v7, vcc
	global_load_dword v4, v[6:7], off
	s_waitcnt vmcnt(0)
	v_add_f32_e32 v4, v5, v4
	global_store_dword v[6:7], v4, off
	v_mov_b32_e32 v4, s21
.LBB1_10:                               ;   in Loop: Header=BB1_11 Depth=1
	s_or_b64 exec, exec, s[14:15]
	s_add_i32 s21, s21, 1
	s_cmp_eq_u32 s21, s0
	s_cbranch_scc1 .LBB1_16
.LBB1_11:                               ; =>This Loop Header: Depth=1
                                        ;     Child Loop BB1_14 Depth 2
	s_mul_i32 s14, s21, s1
	s_ashr_i32 s15, s14, 31
	s_lshl_b64 s[14:15], s[14:15], 2
	v_mov_b32_e32 v6, s15
	v_add_co_u32_e32 v5, vcc, s14, v2
	v_addc_co_u32_e32 v6, vcc, v3, v6, vcc
	global_load_dword v5, v[5:6], off
	s_waitcnt vmcnt(0)
	v_cmp_ge_i32_e32 vcc, s21, v5
	s_and_saveexec_b64 s[14:15], vcc
	s_cbranch_execz .LBB1_10
; %bb.12:                               ;   in Loop: Header=BB1_11 Depth=1
	v_cmp_gt_u32_e32 vcc, s21, v4
	v_mov_b32_e32 v5, 0
	s_and_saveexec_b64 s[16:17], vcc
	s_cbranch_execz .LBB1_9
; %bb.13:                               ;   in Loop: Header=BB1_11 Depth=1
	v_mul_lo_u32 v6, s2, v4
	v_mov_b32_e32 v5, 0
	s_mov_b64 s[18:19], 0
	v_mov_b32_e32 v8, v1
	v_add_u32_e32 v7, s2, v6
.LBB1_14:                               ;   Parent Loop BB1_11 Depth=1
                                        ; =>  This Inner Loop Header: Depth=2
	v_add_u32_e32 v9, v7, v8
	v_ashrrev_i32_e32 v10, 31, v9
	v_add_u32_e32 v11, v6, v8
	v_lshlrev_b64 v[9:10], 2, v[9:10]
	v_ashrrev_i32_e32 v12, 31, v11
	v_mov_b32_e32 v13, s5
	v_lshlrev_b64 v[11:12], 2, v[11:12]
	v_add_co_u32_e32 v9, vcc, s4, v9
	v_addc_co_u32_e32 v10, vcc, v13, v10, vcc
	v_mov_b32_e32 v14, s7
	v_add_co_u32_e32 v11, vcc, s6, v11
	v_addc_co_u32_e32 v12, vcc, v14, v12, vcc
	global_load_dword v13, v[9:10], off
	global_load_dword v14, v[11:12], off
	v_add_u32_e32 v4, 1, v4
	v_cmp_le_u32_e32 vcc, s21, v4
	v_add_u32_e32 v8, s2, v8
	s_or_b64 s[18:19], vcc, s[18:19]
	s_waitcnt vmcnt(0)
	v_fma_f32 v5, -v13, v14, v5
	s_andn2_b64 exec, exec, s[18:19]
	s_cbranch_execnz .LBB1_14
; %bb.15:                               ;   in Loop: Header=BB1_11 Depth=1
	s_or_b64 exec, exec, s[18:19]
	s_branch .LBB1_9
.LBB1_16:
	s_mul_i32 s4, s2, s20
	v_add_u32_e32 v2, s4, v1
	v_ashrrev_i32_e32 v3, 31, v2
	v_lshlrev_b64 v[2:3], 2, v[2:3]
	v_mov_b32_e32 v5, s7
	v_add_co_u32_e32 v4, vcc, s6, v2
	v_addc_co_u32_e32 v5, vcc, v5, v3, vcc
	v_mov_b32_e32 v6, s9
	v_add_co_u32_e32 v2, vcc, s8, v2
	v_addc_co_u32_e32 v3, vcc, v6, v3, vcc
	global_load_dword v10, v[4:5], off
	global_load_dword v11, v[2:3], off
	s_sub_i32 s5, s4, s2
	v_mov_b32_e32 v7, s7
	v_mov_b32_e32 v13, s9
	s_cmp_lt_i32 s0, 3
	s_waitcnt vmcnt(0)
	v_div_scale_f32 v2, s[14:15], v11, v11, v10
	v_div_scale_f32 v3, vcc, v10, v11, v10
	v_rcp_f32_e32 v6, v2
	v_fma_f32 v8, -v2, v6, 1.0
	v_fmac_f32_e32 v6, v8, v6
	v_mul_f32_e32 v8, v3, v6
	v_fma_f32 v9, -v2, v8, v3
	v_fmac_f32_e32 v8, v9, v6
	v_fma_f32 v2, -v2, v8, v3
	v_div_fmas_f32 v12, v2, v6, v8
	v_add_u32_e32 v2, s5, v1
	v_ashrrev_i32_e32 v3, 31, v2
	v_lshlrev_b64 v[2:3], 2, v[2:3]
	v_mov_b32_e32 v9, s11
	v_add_co_u32_e32 v6, vcc, s6, v2
	v_addc_co_u32_e32 v7, vcc, v7, v3, vcc
	v_add_co_u32_e32 v8, vcc, s10, v2
	v_addc_co_u32_e32 v9, vcc, v9, v3, vcc
	global_load_dword v8, v[8:9], off
	v_add_co_u32_e32 v2, vcc, s8, v2
	v_div_fixup_f32 v9, v12, v11, v10
	global_store_dword v[4:5], v9, off
	global_load_dword v4, v[6:7], off
	v_addc_co_u32_e32 v3, vcc, v13, v3, vcc
	global_load_dword v2, v[2:3], off
	s_waitcnt vmcnt(1)
	v_fma_f32 v3, -v9, v8, v4
	s_waitcnt vmcnt(0)
	v_div_scale_f32 v4, s[14:15], v2, v2, v3
	v_div_scale_f32 v5, vcc, v3, v2, v3
	v_rcp_f32_e32 v8, v4
	v_fma_f32 v9, -v4, v8, 1.0
	v_fmac_f32_e32 v8, v9, v8
	v_mul_f32_e32 v9, v5, v8
	v_fma_f32 v10, -v4, v9, v5
	v_fmac_f32_e32 v9, v10, v8
	v_fma_f32 v4, -v4, v9, v5
	v_div_fmas_f32 v4, v4, v8, v9
	v_div_fixup_f32 v2, v4, v2, v3
	global_store_dword v[6:7], v2, off
	s_cbranch_scc1 .LBB1_19
; %bb.17:
	s_add_i32 s5, s0, -3
	s_mul_i32 s14, s1, s5
	s_add_i32 s0, s0, -2
	s_add_i32 s3, s3, s14
	v_add_u32_e32 v2, s3, v0
	s_mul_i32 s3, s2, s0
	s_mul_i32 s5, s2, s5
.LBB1_18:                               ; =>This Inner Loop Header: Depth=1
	v_ashrrev_i32_e32 v3, 31, v2
	v_add_u32_e32 v4, s5, v1
	v_add_u32_e32 v6, s3, v1
	;; [unrolled: 1-line block ×3, first 2 shown]
	v_lshlrev_b64 v[10:11], 2, v[2:3]
	v_ashrrev_i32_e32 v5, 31, v4
	v_ashrrev_i32_e32 v7, 31, v6
	;; [unrolled: 1-line block ×3, first 2 shown]
	v_mov_b32_e32 v12, s13
	v_lshlrev_b64 v[3:4], 2, v[4:5]
	v_lshlrev_b64 v[5:6], 2, v[6:7]
	;; [unrolled: 1-line block ×3, first 2 shown]
	v_add_co_u32_e32 v9, vcc, s12, v10
	v_addc_co_u32_e32 v10, vcc, v12, v11, vcc
	v_mov_b32_e32 v0, s7
	v_add_co_u32_e32 v11, vcc, s6, v3
	v_addc_co_u32_e32 v12, vcc, v0, v4, vcc
	v_mov_b32_e32 v14, s11
	v_add_co_u32_e32 v13, vcc, s10, v3
	v_addc_co_u32_e32 v14, vcc, v14, v4, vcc
	v_add_co_u32_e32 v5, vcc, s6, v5
	v_addc_co_u32_e32 v6, vcc, v0, v6, vcc
	;; [unrolled: 2-line block ×3, first 2 shown]
	v_mov_b32_e32 v15, s9
	global_load_dword v9, v[9:10], off
	v_add_co_u32_e32 v3, vcc, s8, v3
	v_addc_co_u32_e32 v4, vcc, v15, v4, vcc
	global_load_dword v0, v[11:12], off
	global_load_dword v10, v[13:14], off
	global_load_dword v15, v[5:6], off
	global_load_dword v16, v[7:8], off
	global_load_dword v17, v[3:4], off
	s_add_i32 s0, s0, -1
	v_subrev_u32_e32 v1, s2, v1
	v_subrev_u32_e32 v2, s1, v2
	s_cmp_lg_u32 s0, 0
	s_waitcnt vmcnt(2)
	v_fma_f32 v0, -v10, v15, v0
	s_waitcnt vmcnt(1)
	v_fma_f32 v0, -v9, v16, v0
	s_waitcnt vmcnt(0)
	v_div_scale_f32 v3, s[14:15], v17, v17, v0
	v_div_scale_f32 v4, vcc, v0, v17, v0
	v_rcp_f32_e32 v5, v3
	v_fma_f32 v6, -v3, v5, 1.0
	v_fmac_f32_e32 v5, v6, v5
	v_mul_f32_e32 v6, v4, v5
	v_fma_f32 v7, -v3, v6, v4
	v_fmac_f32_e32 v6, v7, v5
	v_fma_f32 v3, -v3, v6, v4
	v_div_fmas_f32 v3, v3, v5, v6
	v_div_fixup_f32 v0, v3, v17, v0
	global_store_dword v[11:12], v0, off
	s_cbranch_scc1 .LBB1_18
.LBB1_19:
	s_endpgm
	.section	.rodata,"a",@progbits
	.p2align	6, 0x0
	.amdhsa_kernel _ZN9rocsparseL32gtsv_interleaved_batch_lu_kernelILj128EfEEviiiPT0_S2_S2_S2_PiS2_
		.amdhsa_group_segment_fixed_size 0
		.amdhsa_private_segment_fixed_size 0
		.amdhsa_kernarg_size 64
		.amdhsa_user_sgpr_count 6
		.amdhsa_user_sgpr_private_segment_buffer 1
		.amdhsa_user_sgpr_dispatch_ptr 0
		.amdhsa_user_sgpr_queue_ptr 0
		.amdhsa_user_sgpr_kernarg_segment_ptr 1
		.amdhsa_user_sgpr_dispatch_id 0
		.amdhsa_user_sgpr_flat_scratch_init 0
		.amdhsa_user_sgpr_private_segment_size 0
		.amdhsa_uses_dynamic_stack 0
		.amdhsa_system_sgpr_private_segment_wavefront_offset 0
		.amdhsa_system_sgpr_workgroup_id_x 1
		.amdhsa_system_sgpr_workgroup_id_y 0
		.amdhsa_system_sgpr_workgroup_id_z 0
		.amdhsa_system_sgpr_workgroup_info 0
		.amdhsa_system_vgpr_workitem_id 0
		.amdhsa_next_free_vgpr 31
		.amdhsa_next_free_sgpr 24
		.amdhsa_reserve_vcc 1
		.amdhsa_reserve_flat_scratch 0
		.amdhsa_float_round_mode_32 0
		.amdhsa_float_round_mode_16_64 0
		.amdhsa_float_denorm_mode_32 3
		.amdhsa_float_denorm_mode_16_64 3
		.amdhsa_dx10_clamp 1
		.amdhsa_ieee_mode 1
		.amdhsa_fp16_overflow 0
		.amdhsa_exception_fp_ieee_invalid_op 0
		.amdhsa_exception_fp_denorm_src 0
		.amdhsa_exception_fp_ieee_div_zero 0
		.amdhsa_exception_fp_ieee_overflow 0
		.amdhsa_exception_fp_ieee_underflow 0
		.amdhsa_exception_fp_ieee_inexact 0
		.amdhsa_exception_int_div_zero 0
	.end_amdhsa_kernel
	.section	.text._ZN9rocsparseL32gtsv_interleaved_batch_lu_kernelILj128EfEEviiiPT0_S2_S2_S2_PiS2_,"axG",@progbits,_ZN9rocsparseL32gtsv_interleaved_batch_lu_kernelILj128EfEEviiiPT0_S2_S2_S2_PiS2_,comdat
.Lfunc_end1:
	.size	_ZN9rocsparseL32gtsv_interleaved_batch_lu_kernelILj128EfEEviiiPT0_S2_S2_S2_PiS2_, .Lfunc_end1-_ZN9rocsparseL32gtsv_interleaved_batch_lu_kernelILj128EfEEviiiPT0_S2_S2_S2_PiS2_
                                        ; -- End function
	.set _ZN9rocsparseL32gtsv_interleaved_batch_lu_kernelILj128EfEEviiiPT0_S2_S2_S2_PiS2_.num_vgpr, 31
	.set _ZN9rocsparseL32gtsv_interleaved_batch_lu_kernelILj128EfEEviiiPT0_S2_S2_S2_PiS2_.num_agpr, 0
	.set _ZN9rocsparseL32gtsv_interleaved_batch_lu_kernelILj128EfEEviiiPT0_S2_S2_S2_PiS2_.numbered_sgpr, 24
	.set _ZN9rocsparseL32gtsv_interleaved_batch_lu_kernelILj128EfEEviiiPT0_S2_S2_S2_PiS2_.num_named_barrier, 0
	.set _ZN9rocsparseL32gtsv_interleaved_batch_lu_kernelILj128EfEEviiiPT0_S2_S2_S2_PiS2_.private_seg_size, 0
	.set _ZN9rocsparseL32gtsv_interleaved_batch_lu_kernelILj128EfEEviiiPT0_S2_S2_S2_PiS2_.uses_vcc, 1
	.set _ZN9rocsparseL32gtsv_interleaved_batch_lu_kernelILj128EfEEviiiPT0_S2_S2_S2_PiS2_.uses_flat_scratch, 0
	.set _ZN9rocsparseL32gtsv_interleaved_batch_lu_kernelILj128EfEEviiiPT0_S2_S2_S2_PiS2_.has_dyn_sized_stack, 0
	.set _ZN9rocsparseL32gtsv_interleaved_batch_lu_kernelILj128EfEEviiiPT0_S2_S2_S2_PiS2_.has_recursion, 0
	.set _ZN9rocsparseL32gtsv_interleaved_batch_lu_kernelILj128EfEEviiiPT0_S2_S2_S2_PiS2_.has_indirect_call, 0
	.section	.AMDGPU.csdata,"",@progbits
; Kernel info:
; codeLenInByte = 1872
; TotalNumSgprs: 28
; NumVgprs: 31
; ScratchSize: 0
; MemoryBound: 0
; FloatMode: 240
; IeeeMode: 1
; LDSByteSize: 0 bytes/workgroup (compile time only)
; SGPRBlocks: 3
; VGPRBlocks: 7
; NumSGPRsForWavesPerEU: 28
; NumVGPRsForWavesPerEU: 31
; Occupancy: 8
; WaveLimiterHint : 0
; COMPUTE_PGM_RSRC2:SCRATCH_EN: 0
; COMPUTE_PGM_RSRC2:USER_SGPR: 6
; COMPUTE_PGM_RSRC2:TRAP_HANDLER: 0
; COMPUTE_PGM_RSRC2:TGID_X_EN: 1
; COMPUTE_PGM_RSRC2:TGID_Y_EN: 0
; COMPUTE_PGM_RSRC2:TGID_Z_EN: 0
; COMPUTE_PGM_RSRC2:TIDIG_COMP_CNT: 0
	.section	.text._ZN9rocsparseL32gtsv_interleaved_batch_qr_kernelILj128EfEEviiiPKT0_PS1_S4_S4_S4_,"axG",@progbits,_ZN9rocsparseL32gtsv_interleaved_batch_qr_kernelILj128EfEEviiiPKT0_PS1_S4_S4_S4_,comdat
	.globl	_ZN9rocsparseL32gtsv_interleaved_batch_qr_kernelILj128EfEEviiiPKT0_PS1_S4_S4_S4_ ; -- Begin function _ZN9rocsparseL32gtsv_interleaved_batch_qr_kernelILj128EfEEviiiPKT0_PS1_S4_S4_S4_
	.p2align	8
	.type	_ZN9rocsparseL32gtsv_interleaved_batch_qr_kernelILj128EfEEviiiPKT0_PS1_S4_S4_S4_,@function
_ZN9rocsparseL32gtsv_interleaved_batch_qr_kernelILj128EfEEviiiPKT0_PS1_S4_S4_S4_: ; @_ZN9rocsparseL32gtsv_interleaved_batch_qr_kernelILj128EfEEviiiPKT0_PS1_S4_S4_S4_
; %bb.0:
	s_load_dwordx4 s[16:19], s[4:5], 0x0
	s_lshl_b32 s6, s6, 7
	v_or_b32_e32 v1, s6, v0
	s_waitcnt lgkmcnt(0)
	v_cmp_gt_i32_e32 vcc, s17, v1
	s_and_saveexec_b64 s[0:1], vcc
	s_cbranch_execz .LBB2_7
; %bb.1:
	s_load_dwordx8 s[8:15], s[4:5], 0x18
	s_add_i32 s7, s16, -1
	s_cmp_lt_i32 s16, 2
	s_cbranch_scc1 .LBB2_4
; %bb.2:
	v_ashrrev_i32_e32 v2, 31, v1
	v_lshlrev_b64 v[2:3], 2, v[1:2]
	s_waitcnt lgkmcnt(0)
	v_mov_b32_e32 v6, s9
	v_add_co_u32_e32 v4, vcc, s8, v2
	v_addc_co_u32_e32 v5, vcc, v6, v3, vcc
	global_load_dword v14, v[4:5], off
	v_mov_b32_e32 v7, s11
	v_add_co_u32_e32 v4, vcc, s10, v2
	v_addc_co_u32_e32 v5, vcc, v7, v3, vcc
	v_mov_b32_e32 v8, s15
	v_add_co_u32_e32 v2, vcc, s14, v2
	v_addc_co_u32_e32 v3, vcc, v8, v3, vcc
	global_load_dword v13, v[4:5], off
	global_load_dword v9, v[2:3], off
	s_load_dwordx2 s[2:3], s[4:5], 0x10
	v_mov_b32_e32 v11, 0x260
	v_mov_b32_e32 v12, s13
	;; [unrolled: 1-line block ×3, first 2 shown]
	s_mov_b32 s4, s7
	s_waitcnt lgkmcnt(0)
	v_mov_b32_e32 v10, s3
	s_mov_b32 s3, 0xf800000
	v_mov_b32_e32 v2, v1
.LBB2_3:                                ; =>This Inner Loop Header: Depth=1
	v_ashrrev_i32_e32 v3, 31, v2
	v_add_u32_e32 v15, s18, v4
	v_lshlrev_b64 v[17:18], 2, v[2:3]
	v_ashrrev_i32_e32 v16, 31, v15
	v_lshlrev_b64 v[19:20], 2, v[15:16]
	v_add_co_u32_e32 v16, vcc, s12, v17
	v_addc_co_u32_e32 v17, vcc, v12, v18, vcc
	v_add_co_u32_e32 v21, vcc, s2, v19
	v_addc_co_u32_e32 v22, vcc, v10, v20, vcc
	global_load_dword v18, v[21:22], off
	s_waitcnt vmcnt(3)
	v_mul_f32_e32 v5, v14, v14
	s_add_i32 s4, s4, -1
	v_add_u32_e32 v2, s17, v2
	s_cmp_eq_u32 s4, 0
	s_waitcnt vmcnt(0)
	v_fmac_f32_e32 v5, v18, v18
	v_mul_f32_e32 v3, 0x4f800000, v5
	v_cmp_gt_f32_e32 vcc, s3, v5
	v_cndmask_b32_e32 v3, v5, v3, vcc
	v_sqrt_f32_e32 v5, v3
	v_add_u32_e32 v21, -1, v5
	v_fma_f32 v22, -v21, v5, v3
	v_cmp_ge_f32_e64 s[0:1], 0, v22
	v_add_u32_e32 v22, 1, v5
	v_cndmask_b32_e64 v21, v5, v21, s[0:1]
	v_fma_f32 v5, -v22, v5, v3
	v_cmp_lt_f32_e64 s[0:1], 0, v5
	v_cndmask_b32_e64 v5, v21, v22, s[0:1]
	v_mul_f32_e32 v21, 0x37800000, v5
	v_cndmask_b32_e32 v5, v5, v21, vcc
	v_cmp_class_f32_e32 vcc, v3, v11
	v_cndmask_b32_e32 v23, v5, v3, vcc
	v_div_scale_f32 v3, s[0:1], v23, v23, v14
	v_rcp_f32_e32 v5, v3
	v_fma_f32 v21, -v3, v5, 1.0
	v_fmac_f32_e32 v5, v21, v5
	v_div_scale_f32 v21, vcc, v14, v23, v14
	v_mul_f32_e32 v22, v21, v5
	v_fma_f32 v24, -v3, v22, v21
	v_fmac_f32_e32 v22, v24, v5
	v_fma_f32 v3, -v3, v22, v21
	v_div_fmas_f32 v24, v3, v5, v22
	v_div_scale_f32 v3, s[0:1], v23, v23, v18
	v_rcp_f32_e32 v5, v3
	v_fma_f32 v21, -v3, v5, 1.0
	v_fmac_f32_e32 v5, v21, v5
	v_div_scale_f32 v21, vcc, v18, v23, v18
	v_mul_f32_e32 v22, v21, v5
	v_fma_f32 v25, -v3, v22, v21
	v_fmac_f32_e32 v22, v25, v5
	v_fma_f32 v3, -v3, v22, v21
	v_div_fmas_f32 v3, v3, v5, v22
	v_add_co_u32_e32 v21, vcc, s10, v19
	v_addc_co_u32_e32 v22, vcc, v7, v20, vcc
	global_load_dword v26, v[21:22], off
	v_ashrrev_i32_e32 v5, 31, v4
	v_div_fixup_f32 v25, v3, v23, v18
	v_mul_f32_e32 v18, v18, v25
	s_waitcnt vmcnt(0)
	v_mul_f32_e32 v3, v26, v25
	global_store_dword v[16:17], v3, off
	v_lshlrev_b64 v[3:4], 2, v[4:5]
	v_div_fixup_f32 v5, v24, v23, v14
	v_add_co_u32_e32 v16, vcc, s8, v3
	v_addc_co_u32_e32 v17, vcc, v6, v4, vcc
	v_add_co_u32_e32 v23, vcc, s8, v19
	v_addc_co_u32_e32 v24, vcc, v6, v20, vcc
	v_fmac_f32_e32 v18, v14, v5
	global_load_dword v14, v[23:24], off
	s_nop 0
	global_store_dword v[16:17], v18, off
	v_add_co_u32_e32 v16, vcc, s10, v3
	v_addc_co_u32_e32 v17, vcc, v7, v4, vcc
	s_waitcnt vmcnt(1)
	v_mul_f32_e32 v18, v14, v25
	v_fmac_f32_e32 v18, v13, v5
	global_store_dword v[16:17], v18, off
	v_add_co_u32_e32 v16, vcc, s14, v3
	v_addc_co_u32_e32 v17, vcc, v8, v4, vcc
	v_add_co_u32_e32 v18, vcc, s14, v19
	v_addc_co_u32_e32 v19, vcc, v8, v20, vcc
	v_mul_f32_e32 v3, v14, v5
	v_fma_f32 v14, -v13, v25, v3
	global_load_dword v3, v[18:19], off
	v_mul_f32_e32 v13, v26, v5
	s_waitcnt vmcnt(0)
	v_mul_f32_e32 v4, v5, v3
	v_mul_f32_e32 v3, v25, v3
	v_fmac_f32_e32 v3, v9, v5
	v_fma_f32 v9, -v9, v25, v4
	v_mov_b32_e32 v4, v15
	global_store_dword v[16:17], v3, off
	global_store_dword v[23:24], v14, off
	;; [unrolled: 1-line block ×4, first 2 shown]
	s_cbranch_scc0 .LBB2_3
.LBB2_4:
	s_mul_i32 s0, s18, s7
	v_add_u32_e32 v2, s0, v1
	v_ashrrev_i32_e32 v3, 31, v2
	v_lshlrev_b64 v[2:3], 2, v[2:3]
	s_waitcnt lgkmcnt(0)
	v_mov_b32_e32 v5, s15
	v_add_co_u32_e32 v4, vcc, s14, v2
	v_addc_co_u32_e32 v5, vcc, v5, v3, vcc
	v_mov_b32_e32 v6, s9
	v_add_co_u32_e32 v2, vcc, s8, v2
	v_addc_co_u32_e32 v3, vcc, v6, v3, vcc
	global_load_dword v10, v[4:5], off
	global_load_dword v11, v[2:3], off
	s_sub_i32 s1, s0, s18
	v_mov_b32_e32 v7, s15
	v_mov_b32_e32 v13, s9
	s_cmp_lt_i32 s16, 3
	s_waitcnt vmcnt(0)
	v_div_scale_f32 v2, s[2:3], v11, v11, v10
	v_div_scale_f32 v3, vcc, v10, v11, v10
	v_rcp_f32_e32 v6, v2
	v_fma_f32 v8, -v2, v6, 1.0
	v_fmac_f32_e32 v6, v8, v6
	v_mul_f32_e32 v8, v3, v6
	v_fma_f32 v9, -v2, v8, v3
	v_fmac_f32_e32 v8, v9, v6
	v_fma_f32 v2, -v2, v8, v3
	v_div_fmas_f32 v12, v2, v6, v8
	v_add_u32_e32 v2, s1, v1
	v_ashrrev_i32_e32 v3, 31, v2
	v_lshlrev_b64 v[2:3], 2, v[2:3]
	v_mov_b32_e32 v9, s11
	v_add_co_u32_e32 v6, vcc, s14, v2
	v_addc_co_u32_e32 v7, vcc, v7, v3, vcc
	v_add_co_u32_e32 v8, vcc, s10, v2
	v_addc_co_u32_e32 v9, vcc, v9, v3, vcc
	global_load_dword v8, v[8:9], off
	v_add_co_u32_e32 v2, vcc, s8, v2
	v_div_fixup_f32 v9, v12, v11, v10
	global_store_dword v[4:5], v9, off
	global_load_dword v4, v[6:7], off
	v_addc_co_u32_e32 v3, vcc, v13, v3, vcc
	global_load_dword v2, v[2:3], off
	s_waitcnt vmcnt(1)
	v_fma_f32 v3, -v9, v8, v4
	s_waitcnt vmcnt(0)
	v_div_scale_f32 v4, s[2:3], v2, v2, v3
	v_div_scale_f32 v5, vcc, v3, v2, v3
	v_rcp_f32_e32 v8, v4
	v_fma_f32 v9, -v4, v8, 1.0
	v_fmac_f32_e32 v8, v9, v8
	v_mul_f32_e32 v9, v5, v8
	v_fma_f32 v10, -v4, v9, v5
	v_fmac_f32_e32 v9, v10, v8
	v_fma_f32 v4, -v4, v9, v5
	v_div_fmas_f32 v4, v4, v8, v9
	v_div_fixup_f32 v2, v4, v2, v3
	global_store_dword v[6:7], v2, off
	s_cbranch_scc1 .LBB2_7
; %bb.5:
	s_add_i32 s3, s16, -3
	s_mul_i32 s2, s17, s3
	s_add_i32 s1, s16, -2
	s_add_i32 s6, s6, s2
	v_add_u32_e32 v2, s6, v0
	s_mul_i32 s2, s18, s1
	s_mul_i32 s3, s18, s3
.LBB2_6:                                ; =>This Inner Loop Header: Depth=1
	v_ashrrev_i32_e32 v3, 31, v2
	v_add_u32_e32 v4, s3, v1
	v_add_u32_e32 v6, s2, v1
	;; [unrolled: 1-line block ×3, first 2 shown]
	v_lshlrev_b64 v[10:11], 2, v[2:3]
	v_ashrrev_i32_e32 v5, 31, v4
	v_ashrrev_i32_e32 v7, 31, v6
	;; [unrolled: 1-line block ×3, first 2 shown]
	v_mov_b32_e32 v12, s13
	v_lshlrev_b64 v[3:4], 2, v[4:5]
	v_lshlrev_b64 v[5:6], 2, v[6:7]
	;; [unrolled: 1-line block ×3, first 2 shown]
	v_add_co_u32_e32 v9, vcc, s12, v10
	v_addc_co_u32_e32 v10, vcc, v12, v11, vcc
	v_mov_b32_e32 v0, s15
	v_add_co_u32_e32 v11, vcc, s14, v3
	v_addc_co_u32_e32 v12, vcc, v0, v4, vcc
	v_mov_b32_e32 v14, s11
	v_add_co_u32_e32 v13, vcc, s10, v3
	v_addc_co_u32_e32 v14, vcc, v14, v4, vcc
	v_add_co_u32_e32 v5, vcc, s14, v5
	v_addc_co_u32_e32 v6, vcc, v0, v6, vcc
	;; [unrolled: 2-line block ×3, first 2 shown]
	v_mov_b32_e32 v15, s9
	global_load_dword v9, v[9:10], off
	v_add_co_u32_e32 v3, vcc, s8, v3
	v_addc_co_u32_e32 v4, vcc, v15, v4, vcc
	global_load_dword v0, v[11:12], off
	global_load_dword v10, v[13:14], off
	;; [unrolled: 1-line block ×5, first 2 shown]
	s_add_i32 s1, s1, -1
	v_subrev_u32_e32 v1, s18, v1
	v_subrev_u32_e32 v2, s17, v2
	s_cmp_lg_u32 s1, 0
	s_waitcnt vmcnt(2)
	v_fma_f32 v0, -v10, v15, v0
	s_waitcnt vmcnt(1)
	v_fma_f32 v0, -v9, v16, v0
	s_waitcnt vmcnt(0)
	v_div_scale_f32 v3, s[4:5], v17, v17, v0
	v_div_scale_f32 v4, vcc, v0, v17, v0
	v_rcp_f32_e32 v5, v3
	v_fma_f32 v6, -v3, v5, 1.0
	v_fmac_f32_e32 v5, v6, v5
	v_mul_f32_e32 v6, v4, v5
	v_fma_f32 v7, -v3, v6, v4
	v_fmac_f32_e32 v6, v7, v5
	v_fma_f32 v3, -v3, v6, v4
	v_div_fmas_f32 v3, v3, v5, v6
	v_div_fixup_f32 v0, v3, v17, v0
	global_store_dword v[11:12], v0, off
	s_cbranch_scc1 .LBB2_6
.LBB2_7:
	s_endpgm
	.section	.rodata,"a",@progbits
	.p2align	6, 0x0
	.amdhsa_kernel _ZN9rocsparseL32gtsv_interleaved_batch_qr_kernelILj128EfEEviiiPKT0_PS1_S4_S4_S4_
		.amdhsa_group_segment_fixed_size 0
		.amdhsa_private_segment_fixed_size 0
		.amdhsa_kernarg_size 56
		.amdhsa_user_sgpr_count 6
		.amdhsa_user_sgpr_private_segment_buffer 1
		.amdhsa_user_sgpr_dispatch_ptr 0
		.amdhsa_user_sgpr_queue_ptr 0
		.amdhsa_user_sgpr_kernarg_segment_ptr 1
		.amdhsa_user_sgpr_dispatch_id 0
		.amdhsa_user_sgpr_flat_scratch_init 0
		.amdhsa_user_sgpr_private_segment_size 0
		.amdhsa_uses_dynamic_stack 0
		.amdhsa_system_sgpr_private_segment_wavefront_offset 0
		.amdhsa_system_sgpr_workgroup_id_x 1
		.amdhsa_system_sgpr_workgroup_id_y 0
		.amdhsa_system_sgpr_workgroup_id_z 0
		.amdhsa_system_sgpr_workgroup_info 0
		.amdhsa_system_vgpr_workitem_id 0
		.amdhsa_next_free_vgpr 27
		.amdhsa_next_free_sgpr 20
		.amdhsa_reserve_vcc 1
		.amdhsa_reserve_flat_scratch 0
		.amdhsa_float_round_mode_32 0
		.amdhsa_float_round_mode_16_64 0
		.amdhsa_float_denorm_mode_32 3
		.amdhsa_float_denorm_mode_16_64 3
		.amdhsa_dx10_clamp 1
		.amdhsa_ieee_mode 1
		.amdhsa_fp16_overflow 0
		.amdhsa_exception_fp_ieee_invalid_op 0
		.amdhsa_exception_fp_denorm_src 0
		.amdhsa_exception_fp_ieee_div_zero 0
		.amdhsa_exception_fp_ieee_overflow 0
		.amdhsa_exception_fp_ieee_underflow 0
		.amdhsa_exception_fp_ieee_inexact 0
		.amdhsa_exception_int_div_zero 0
	.end_amdhsa_kernel
	.section	.text._ZN9rocsparseL32gtsv_interleaved_batch_qr_kernelILj128EfEEviiiPKT0_PS1_S4_S4_S4_,"axG",@progbits,_ZN9rocsparseL32gtsv_interleaved_batch_qr_kernelILj128EfEEviiiPKT0_PS1_S4_S4_S4_,comdat
.Lfunc_end2:
	.size	_ZN9rocsparseL32gtsv_interleaved_batch_qr_kernelILj128EfEEviiiPKT0_PS1_S4_S4_S4_, .Lfunc_end2-_ZN9rocsparseL32gtsv_interleaved_batch_qr_kernelILj128EfEEviiiPKT0_PS1_S4_S4_S4_
                                        ; -- End function
	.set _ZN9rocsparseL32gtsv_interleaved_batch_qr_kernelILj128EfEEviiiPKT0_PS1_S4_S4_S4_.num_vgpr, 27
	.set _ZN9rocsparseL32gtsv_interleaved_batch_qr_kernelILj128EfEEviiiPKT0_PS1_S4_S4_S4_.num_agpr, 0
	.set _ZN9rocsparseL32gtsv_interleaved_batch_qr_kernelILj128EfEEviiiPKT0_PS1_S4_S4_S4_.numbered_sgpr, 20
	.set _ZN9rocsparseL32gtsv_interleaved_batch_qr_kernelILj128EfEEviiiPKT0_PS1_S4_S4_S4_.num_named_barrier, 0
	.set _ZN9rocsparseL32gtsv_interleaved_batch_qr_kernelILj128EfEEviiiPKT0_PS1_S4_S4_S4_.private_seg_size, 0
	.set _ZN9rocsparseL32gtsv_interleaved_batch_qr_kernelILj128EfEEviiiPKT0_PS1_S4_S4_S4_.uses_vcc, 1
	.set _ZN9rocsparseL32gtsv_interleaved_batch_qr_kernelILj128EfEEviiiPKT0_PS1_S4_S4_S4_.uses_flat_scratch, 0
	.set _ZN9rocsparseL32gtsv_interleaved_batch_qr_kernelILj128EfEEviiiPKT0_PS1_S4_S4_S4_.has_dyn_sized_stack, 0
	.set _ZN9rocsparseL32gtsv_interleaved_batch_qr_kernelILj128EfEEviiiPKT0_PS1_S4_S4_S4_.has_recursion, 0
	.set _ZN9rocsparseL32gtsv_interleaved_batch_qr_kernelILj128EfEEviiiPKT0_PS1_S4_S4_S4_.has_indirect_call, 0
	.section	.AMDGPU.csdata,"",@progbits
; Kernel info:
; codeLenInByte = 1380
; TotalNumSgprs: 24
; NumVgprs: 27
; ScratchSize: 0
; MemoryBound: 0
; FloatMode: 240
; IeeeMode: 1
; LDSByteSize: 0 bytes/workgroup (compile time only)
; SGPRBlocks: 2
; VGPRBlocks: 6
; NumSGPRsForWavesPerEU: 24
; NumVGPRsForWavesPerEU: 27
; Occupancy: 9
; WaveLimiterHint : 0
; COMPUTE_PGM_RSRC2:SCRATCH_EN: 0
; COMPUTE_PGM_RSRC2:USER_SGPR: 6
; COMPUTE_PGM_RSRC2:TRAP_HANDLER: 0
; COMPUTE_PGM_RSRC2:TGID_X_EN: 1
; COMPUTE_PGM_RSRC2:TGID_Y_EN: 0
; COMPUTE_PGM_RSRC2:TGID_Z_EN: 0
; COMPUTE_PGM_RSRC2:TIDIG_COMP_CNT: 0
	.section	.text._ZN9rocsparseL36gtsv_interleaved_batch_thomas_kernelILj128EdEEviiiPKT0_S3_S3_PS1_S4_S4_,"axG",@progbits,_ZN9rocsparseL36gtsv_interleaved_batch_thomas_kernelILj128EdEEviiiPKT0_S3_S3_PS1_S4_S4_,comdat
	.globl	_ZN9rocsparseL36gtsv_interleaved_batch_thomas_kernelILj128EdEEviiiPKT0_S3_S3_PS1_S4_S4_ ; -- Begin function _ZN9rocsparseL36gtsv_interleaved_batch_thomas_kernelILj128EdEEviiiPKT0_S3_S3_PS1_S4_S4_
	.p2align	8
	.type	_ZN9rocsparseL36gtsv_interleaved_batch_thomas_kernelILj128EdEEviiiPKT0_S3_S3_PS1_S4_S4_,@function
_ZN9rocsparseL36gtsv_interleaved_batch_thomas_kernelILj128EdEEviiiPKT0_S3_S3_PS1_S4_S4_: ; @_ZN9rocsparseL36gtsv_interleaved_batch_thomas_kernelILj128EdEEviiiPKT0_S3_S3_PS1_S4_S4_
; %bb.0:
	s_load_dwordx4 s[16:19], s[4:5], 0x0
	s_lshl_b32 s22, s6, 7
	v_or_b32_e32 v1, s22, v0
	s_waitcnt lgkmcnt(0)
	v_cmp_gt_i32_e32 vcc, s17, v1
	s_and_saveexec_b64 s[0:1], vcc
	s_cbranch_execz .LBB3_9
; %bb.1:
	s_load_dwordx8 s[8:15], s[4:5], 0x18
	s_load_dwordx2 s[2:3], s[4:5], 0x38
	v_ashrrev_i32_e32 v2, 31, v1
	v_lshlrev_b64 v[7:8], 3, v[1:2]
	s_cmp_gt_i32 s16, 1
	s_waitcnt lgkmcnt(0)
	v_mov_b32_e32 v2, s11
	v_add_co_u32_e32 v1, vcc, s10, v7
	v_addc_co_u32_e32 v2, vcc, v2, v8, vcc
	global_load_dwordx2 v[3:4], v[1:2], off
	v_mov_b32_e32 v2, s9
	v_add_co_u32_e32 v1, vcc, s8, v7
	v_addc_co_u32_e32 v2, vcc, v2, v8, vcc
	global_load_dwordx2 v[5:6], v[1:2], off
	v_mov_b32_e32 v2, s3
	v_add_co_u32_e32 v1, vcc, s2, v7
	v_addc_co_u32_e32 v2, vcc, v2, v8, vcc
	global_load_dwordx2 v[9:10], v[1:2], off
	s_cselect_b64 s[6:7], -1, 0
	s_waitcnt vmcnt(1)
	v_div_scale_f64 v[11:12], s[0:1], v[5:6], v[5:6], v[3:4]
	s_waitcnt vmcnt(0)
	v_div_scale_f64 v[13:14], s[0:1], v[5:6], v[5:6], v[9:10]
	v_div_scale_f64 v[23:24], s[0:1], v[9:10], v[5:6], v[9:10]
	v_rcp_f64_e32 v[15:16], v[11:12]
	v_rcp_f64_e32 v[17:18], v[13:14]
	v_fma_f64 v[19:20], -v[11:12], v[15:16], 1.0
	v_fma_f64 v[21:22], -v[13:14], v[17:18], 1.0
	v_fma_f64 v[15:16], v[15:16], v[19:20], v[15:16]
	v_div_scale_f64 v[19:20], vcc, v[3:4], v[5:6], v[3:4]
	v_fma_f64 v[17:18], v[17:18], v[21:22], v[17:18]
	v_fma_f64 v[21:22], -v[11:12], v[15:16], 1.0
	v_fma_f64 v[25:26], -v[13:14], v[17:18], 1.0
	v_fma_f64 v[15:16], v[15:16], v[21:22], v[15:16]
	v_fma_f64 v[17:18], v[17:18], v[25:26], v[17:18]
	v_mul_f64 v[21:22], v[19:20], v[15:16]
	v_mul_f64 v[25:26], v[23:24], v[17:18]
	v_fma_f64 v[11:12], -v[11:12], v[21:22], v[19:20]
	v_fma_f64 v[13:14], -v[13:14], v[25:26], v[23:24]
	v_div_fmas_f64 v[11:12], v[11:12], v[15:16], v[21:22]
	s_mov_b64 vcc, s[0:1]
	v_mov_b32_e32 v15, s13
	v_mov_b32_e32 v16, s15
	v_div_fmas_f64 v[13:14], v[13:14], v[17:18], v[25:26]
	s_and_b64 vcc, exec, s[6:7]
	v_div_fixup_f64 v[11:12], v[11:12], v[5:6], v[3:4]
	v_add_co_u32_e64 v3, s[0:1], s12, v7
	v_addc_co_u32_e64 v4, s[0:1], v15, v8, s[0:1]
	v_div_fixup_f64 v[9:10], v[13:14], v[5:6], v[9:10]
	v_add_co_u32_e64 v5, s[0:1], s14, v7
	v_addc_co_u32_e64 v6, s[0:1], v16, v8, s[0:1]
	global_store_dwordx2 v[3:4], v[11:12], off
	global_store_dwordx2 v[5:6], v[9:10], off
	s_cbranch_vccnz .LBB3_3
; %bb.2:
	s_add_i32 s26, s16, -1
	s_cbranch_execz .LBB3_4
	s_branch .LBB3_6
.LBB3_3:
                                        ; implicit-def: $sgpr26
.LBB3_4:
	s_load_dwordx2 s[4:5], s[4:5], 0x10
	s_ashr_i32 s19, s18, 31
	s_lshl_b64 s[20:21], s[18:19], 3
	v_mov_b32_e32 v11, s21
	v_add_co_u32_e32 v12, vcc, s20, v7
	s_add_i32 s22, s22, s18
	s_ashr_i32 s1, s17, 31
	s_mov_b32 s0, s17
	v_addc_co_u32_e32 v13, vcc, v11, v8, vcc
	v_add_u32_e32 v9, s22, v0
	s_lshl_b64 s[22:23], s[0:1], 3
	s_add_i32 s26, s16, -1
	v_mov_b32_e32 v0, s23
	v_add_co_u32_e32 v7, vcc, s22, v7
	v_addc_co_u32_e32 v8, vcc, v0, v8, vcc
	s_mov_b32 s24, 0
	v_mov_b32_e32 v14, s11
	v_mov_b32_e32 v15, s9
	s_waitcnt lgkmcnt(0)
	v_mov_b32_e32 v16, s5
	v_mov_b32_e32 v17, s3
	;; [unrolled: 1-line block ×4, first 2 shown]
	s_mov_b32 s3, s26
.LBB3_5:                                ; =>This Inner Loop Header: Depth=1
	v_ashrrev_i32_e32 v10, 31, v9
	v_add_co_u32_e32 v20, vcc, s10, v12
	v_addc_co_u32_e32 v21, vcc, v14, v13, vcc
	v_lshlrev_b64 v[24:25], 3, v[9:10]
	s_ashr_i32 s25, s24, 31
	v_add_co_u32_e32 v22, vcc, s8, v12
	v_addc_co_u32_e32 v23, vcc, v15, v13, vcc
	s_lshl_b64 s[28:29], s[24:25], 3
	v_add_co_u32_e64 v24, s[0:1], s4, v24
	global_load_dwordx2 v[22:23], v[22:23], off
	v_mov_b32_e32 v10, s29
	v_add_co_u32_e32 v26, vcc, s28, v3
	v_addc_co_u32_e64 v25, s[0:1], v16, v25, s[0:1]
	v_addc_co_u32_e32 v27, vcc, v4, v10, vcc
	global_load_dwordx2 v[28:29], v[24:25], off
	global_load_dwordx2 v[30:31], v[26:27], off
	;; [unrolled: 1-line block ×3, first 2 shown]
	s_add_i32 s3, s3, -1
	s_add_i32 s24, s24, s17
	v_add_u32_e32 v9, s18, v9
	s_cmp_eq_u32 s3, 0
	s_waitcnt vmcnt(1)
	v_fma_f64 v[20:21], -v[28:29], v[30:31], v[22:23]
	s_waitcnt vmcnt(0)
	v_div_scale_f64 v[24:25], s[0:1], v[20:21], v[20:21], v[32:33]
	v_rcp_f64_e32 v[30:31], v[24:25]
	v_fma_f64 v[34:35], -v[24:25], v[30:31], 1.0
	v_fma_f64 v[30:31], v[30:31], v[34:35], v[30:31]
	v_fma_f64 v[34:35], -v[24:25], v[30:31], 1.0
	v_fma_f64 v[30:31], v[30:31], v[34:35], v[30:31]
	v_div_scale_f64 v[34:35], vcc, v[32:33], v[20:21], v[32:33]
	v_mul_f64 v[36:37], v[34:35], v[30:31]
	v_fma_f64 v[24:25], -v[24:25], v[36:37], v[34:35]
	s_nop 1
	v_div_fmas_f64 v[24:25], v[24:25], v[30:31], v[36:37]
	v_add_co_u32_e32 v30, vcc, s12, v7
	v_addc_co_u32_e32 v31, vcc, v18, v8, vcc
	v_add_co_u32_e32 v34, vcc, s2, v12
	v_addc_co_u32_e32 v35, vcc, v17, v13, vcc
	v_div_fixup_f64 v[20:21], v[24:25], v[20:21], v[32:33]
	v_add_co_u32_e32 v32, vcc, s28, v5
	v_addc_co_u32_e32 v33, vcc, v6, v10, vcc
	global_load_dwordx2 v[24:25], v[34:35], off
	s_nop 0
	global_load_dwordx2 v[32:33], v[32:33], off
	s_waitcnt vmcnt(0)
	v_fma_f64 v[24:25], -v[28:29], v[32:33], v[24:25]
	global_store_dwordx2 v[30:31], v[20:21], off
	global_load_dwordx2 v[20:21], v[26:27], off
	s_waitcnt vmcnt(0)
	v_fma_f64 v[20:21], -v[28:29], v[20:21], v[22:23]
	v_div_scale_f64 v[22:23], s[0:1], v[20:21], v[20:21], v[24:25]
	v_rcp_f64_e32 v[26:27], v[22:23]
	v_fma_f64 v[28:29], -v[22:23], v[26:27], 1.0
	v_fma_f64 v[26:27], v[26:27], v[28:29], v[26:27]
	v_div_scale_f64 v[28:29], vcc, v[24:25], v[20:21], v[24:25]
	v_fma_f64 v[30:31], -v[22:23], v[26:27], 1.0
	v_fma_f64 v[26:27], v[26:27], v[30:31], v[26:27]
	v_mul_f64 v[30:31], v[28:29], v[26:27]
	v_fma_f64 v[22:23], -v[22:23], v[30:31], v[28:29]
	v_div_fmas_f64 v[22:23], v[22:23], v[26:27], v[30:31]
	v_add_co_u32_e32 v26, vcc, s14, v7
	v_addc_co_u32_e32 v27, vcc, v19, v8, vcc
	v_add_co_u32_e32 v12, vcc, s20, v12
	v_addc_co_u32_e32 v13, vcc, v13, v11, vcc
	;; [unrolled: 2-line block ×3, first 2 shown]
	v_div_fixup_f64 v[20:21], v[22:23], v[20:21], v[24:25]
	global_store_dwordx2 v[26:27], v[20:21], off
	s_cbranch_scc0 .LBB3_5
.LBB3_6:
	s_mul_i32 s0, s17, s26
	s_ashr_i32 s1, s0, 31
	s_lshl_b64 s[0:1], s[0:1], 3
	v_mov_b32_e32 v0, s1
	v_add_co_u32_e32 v7, vcc, s0, v5
	v_addc_co_u32_e32 v8, vcc, v6, v0, vcc
	global_load_dwordx2 v[7:8], v[7:8], off
	s_mul_i32 s2, s18, s26
	s_ashr_i32 s3, s2, 31
	s_lshl_b64 s[0:1], s[2:3], 3
	v_mov_b32_e32 v0, s1
	v_add_co_u32_e32 v9, vcc, s0, v1
	v_addc_co_u32_e32 v10, vcc, v2, v0, vcc
	s_andn2_b64 vcc, exec, s[6:7]
	s_waitcnt vmcnt(0)
	global_store_dwordx2 v[9:10], v[7:8], off
	s_cbranch_vccnz .LBB3_9
; %bb.7:
	s_add_i32 s0, s16, -2
	s_mul_i32 s3, s18, s0
	s_mul_i32 s4, s17, s0
	s_mov_b32 s6, 0
.LBB3_8:                                ; =>This Inner Loop Header: Depth=1
	s_ashr_i32 s5, s4, 31
	s_add_i32 s0, s2, s6
	s_lshl_b64 s[8:9], s[4:5], 3
	s_ashr_i32 s1, s0, 31
	v_mov_b32_e32 v0, s9
	v_add_co_u32_e32 v7, vcc, s8, v3
	s_lshl_b64 s[10:11], s[0:1], 3
	v_add_co_u32_e64 v9, s[0:1], s8, v5
	v_addc_co_u32_e32 v8, vcc, v4, v0, vcc
	v_addc_co_u32_e64 v10, s[0:1], v6, v0, s[0:1]
	v_mov_b32_e32 v0, s11
	v_add_co_u32_e32 v11, vcc, s10, v1
	v_addc_co_u32_e32 v12, vcc, v2, v0, vcc
	global_load_dwordx2 v[13:14], v[9:10], off
	global_load_dwordx2 v[15:16], v[7:8], off
	s_add_i32 s0, s3, s6
	global_load_dwordx2 v[7:8], v[11:12], off
	s_ashr_i32 s1, s0, 31
	s_lshl_b64 s[0:1], s[0:1], 3
	s_add_i32 s26, s26, -1
	s_sub_i32 s6, s6, s18
	s_sub_i32 s4, s4, s17
	v_mov_b32_e32 v0, s1
	v_add_co_u32_e32 v9, vcc, s0, v1
	s_cmp_lg_u32 s26, 0
	v_addc_co_u32_e32 v10, vcc, v2, v0, vcc
	s_waitcnt vmcnt(0)
	v_fma_f64 v[7:8], -v[15:16], v[7:8], v[13:14]
	global_store_dwordx2 v[9:10], v[7:8], off
	s_cbranch_scc1 .LBB3_8
.LBB3_9:
	s_endpgm
	.section	.rodata,"a",@progbits
	.p2align	6, 0x0
	.amdhsa_kernel _ZN9rocsparseL36gtsv_interleaved_batch_thomas_kernelILj128EdEEviiiPKT0_S3_S3_PS1_S4_S4_
		.amdhsa_group_segment_fixed_size 0
		.amdhsa_private_segment_fixed_size 0
		.amdhsa_kernarg_size 64
		.amdhsa_user_sgpr_count 6
		.amdhsa_user_sgpr_private_segment_buffer 1
		.amdhsa_user_sgpr_dispatch_ptr 0
		.amdhsa_user_sgpr_queue_ptr 0
		.amdhsa_user_sgpr_kernarg_segment_ptr 1
		.amdhsa_user_sgpr_dispatch_id 0
		.amdhsa_user_sgpr_flat_scratch_init 0
		.amdhsa_user_sgpr_private_segment_size 0
		.amdhsa_uses_dynamic_stack 0
		.amdhsa_system_sgpr_private_segment_wavefront_offset 0
		.amdhsa_system_sgpr_workgroup_id_x 1
		.amdhsa_system_sgpr_workgroup_id_y 0
		.amdhsa_system_sgpr_workgroup_id_z 0
		.amdhsa_system_sgpr_workgroup_info 0
		.amdhsa_system_vgpr_workitem_id 0
		.amdhsa_next_free_vgpr 38
		.amdhsa_next_free_sgpr 30
		.amdhsa_reserve_vcc 1
		.amdhsa_reserve_flat_scratch 0
		.amdhsa_float_round_mode_32 0
		.amdhsa_float_round_mode_16_64 0
		.amdhsa_float_denorm_mode_32 3
		.amdhsa_float_denorm_mode_16_64 3
		.amdhsa_dx10_clamp 1
		.amdhsa_ieee_mode 1
		.amdhsa_fp16_overflow 0
		.amdhsa_exception_fp_ieee_invalid_op 0
		.amdhsa_exception_fp_denorm_src 0
		.amdhsa_exception_fp_ieee_div_zero 0
		.amdhsa_exception_fp_ieee_overflow 0
		.amdhsa_exception_fp_ieee_underflow 0
		.amdhsa_exception_fp_ieee_inexact 0
		.amdhsa_exception_int_div_zero 0
	.end_amdhsa_kernel
	.section	.text._ZN9rocsparseL36gtsv_interleaved_batch_thomas_kernelILj128EdEEviiiPKT0_S3_S3_PS1_S4_S4_,"axG",@progbits,_ZN9rocsparseL36gtsv_interleaved_batch_thomas_kernelILj128EdEEviiiPKT0_S3_S3_PS1_S4_S4_,comdat
.Lfunc_end3:
	.size	_ZN9rocsparseL36gtsv_interleaved_batch_thomas_kernelILj128EdEEviiiPKT0_S3_S3_PS1_S4_S4_, .Lfunc_end3-_ZN9rocsparseL36gtsv_interleaved_batch_thomas_kernelILj128EdEEviiiPKT0_S3_S3_PS1_S4_S4_
                                        ; -- End function
	.set _ZN9rocsparseL36gtsv_interleaved_batch_thomas_kernelILj128EdEEviiiPKT0_S3_S3_PS1_S4_S4_.num_vgpr, 38
	.set _ZN9rocsparseL36gtsv_interleaved_batch_thomas_kernelILj128EdEEviiiPKT0_S3_S3_PS1_S4_S4_.num_agpr, 0
	.set _ZN9rocsparseL36gtsv_interleaved_batch_thomas_kernelILj128EdEEviiiPKT0_S3_S3_PS1_S4_S4_.numbered_sgpr, 30
	.set _ZN9rocsparseL36gtsv_interleaved_batch_thomas_kernelILj128EdEEviiiPKT0_S3_S3_PS1_S4_S4_.num_named_barrier, 0
	.set _ZN9rocsparseL36gtsv_interleaved_batch_thomas_kernelILj128EdEEviiiPKT0_S3_S3_PS1_S4_S4_.private_seg_size, 0
	.set _ZN9rocsparseL36gtsv_interleaved_batch_thomas_kernelILj128EdEEviiiPKT0_S3_S3_PS1_S4_S4_.uses_vcc, 1
	.set _ZN9rocsparseL36gtsv_interleaved_batch_thomas_kernelILj128EdEEviiiPKT0_S3_S3_PS1_S4_S4_.uses_flat_scratch, 0
	.set _ZN9rocsparseL36gtsv_interleaved_batch_thomas_kernelILj128EdEEviiiPKT0_S3_S3_PS1_S4_S4_.has_dyn_sized_stack, 0
	.set _ZN9rocsparseL36gtsv_interleaved_batch_thomas_kernelILj128EdEEviiiPKT0_S3_S3_PS1_S4_S4_.has_recursion, 0
	.set _ZN9rocsparseL36gtsv_interleaved_batch_thomas_kernelILj128EdEEviiiPKT0_S3_S3_PS1_S4_S4_.has_indirect_call, 0
	.section	.AMDGPU.csdata,"",@progbits
; Kernel info:
; codeLenInByte = 1152
; TotalNumSgprs: 34
; NumVgprs: 38
; ScratchSize: 0
; MemoryBound: 0
; FloatMode: 240
; IeeeMode: 1
; LDSByteSize: 0 bytes/workgroup (compile time only)
; SGPRBlocks: 4
; VGPRBlocks: 9
; NumSGPRsForWavesPerEU: 34
; NumVGPRsForWavesPerEU: 38
; Occupancy: 6
; WaveLimiterHint : 0
; COMPUTE_PGM_RSRC2:SCRATCH_EN: 0
; COMPUTE_PGM_RSRC2:USER_SGPR: 6
; COMPUTE_PGM_RSRC2:TRAP_HANDLER: 0
; COMPUTE_PGM_RSRC2:TGID_X_EN: 1
; COMPUTE_PGM_RSRC2:TGID_Y_EN: 0
; COMPUTE_PGM_RSRC2:TGID_Z_EN: 0
; COMPUTE_PGM_RSRC2:TIDIG_COMP_CNT: 0
	.section	.text._ZN9rocsparseL32gtsv_interleaved_batch_lu_kernelILj128EdEEviiiPT0_S2_S2_S2_PiS2_,"axG",@progbits,_ZN9rocsparseL32gtsv_interleaved_batch_lu_kernelILj128EdEEviiiPT0_S2_S2_S2_PiS2_,comdat
	.globl	_ZN9rocsparseL32gtsv_interleaved_batch_lu_kernelILj128EdEEviiiPT0_S2_S2_S2_PiS2_ ; -- Begin function _ZN9rocsparseL32gtsv_interleaved_batch_lu_kernelILj128EdEEviiiPT0_S2_S2_S2_PiS2_
	.p2align	8
	.type	_ZN9rocsparseL32gtsv_interleaved_batch_lu_kernelILj128EdEEviiiPT0_S2_S2_S2_PiS2_,@function
_ZN9rocsparseL32gtsv_interleaved_batch_lu_kernelILj128EdEEviiiPT0_S2_S2_S2_PiS2_: ; @_ZN9rocsparseL32gtsv_interleaved_batch_lu_kernelILj128EdEEviiiPT0_S2_S2_S2_PiS2_
; %bb.0:
	s_load_dwordx4 s[16:19], s[4:5], 0x0
	s_waitcnt lgkmcnt(0)
	s_lshl_b32 s19, s6, 7
	v_or_b32_e32 v1, s19, v0
	v_cmp_gt_i32_e32 vcc, s17, v1
	s_and_saveexec_b64 s[0:1], vcc
	s_cbranch_execz .LBB4_19
; %bb.1:
	s_load_dwordx8 s[8:15], s[4:5], 0x18
	s_load_dwordx2 s[2:3], s[4:5], 0x38
	v_ashrrev_i32_e32 v2, 31, v1
	v_lshlrev_b64 v[2:3], 2, v[1:2]
	s_add_i32 s20, s16, -1
	s_waitcnt lgkmcnt(0)
	v_mov_b32_e32 v4, s15
	v_add_co_u32_e32 v2, vcc, s14, v2
	v_addc_co_u32_e32 v3, vcc, v4, v3, vcc
	v_mov_b32_e32 v4, 0
	s_cmp_lt_i32 s16, 2
	global_store_dword v[2:3], v4, off
	s_cbranch_scc1 .LBB4_16
; %bb.2:
	s_load_dwordx2 s[0:1], s[4:5], 0x10
	s_mov_b32 s21, 0
	v_mov_b32_e32 v18, s9
	s_waitcnt lgkmcnt(0)
	v_mov_b32_e32 v17, s1
	s_branch .LBB4_4
.LBB4_3:                                ;   in Loop: Header=BB4_4 Depth=1
	s_or_b64 exec, exec, s[6:7]
	s_cmp_lg_u32 s21, s20
	s_cbranch_scc0 .LBB4_8
.LBB4_4:                                ; =>This Inner Loop Header: Depth=1
	s_mul_i32 s5, s21, s18
	v_add_u32_e32 v9, s5, v1
	v_add_u32_e32 v4, s18, v9
	v_ashrrev_i32_e32 v5, 31, v4
	v_lshlrev_b64 v[7:8], 3, v[4:5]
	v_ashrrev_i32_e32 v10, 31, v9
	v_add_co_u32_e32 v4, vcc, s0, v7
	v_lshlrev_b64 v[9:10], 3, v[9:10]
	v_addc_co_u32_e32 v5, vcc, v17, v8, vcc
	v_add_co_u32_e32 v15, vcc, s8, v9
	v_addc_co_u32_e32 v16, vcc, v18, v10, vcc
	global_load_dwordx2 v[11:12], v[4:5], off
	global_load_dwordx2 v[13:14], v[15:16], off
	s_mov_b32 s4, s21
	s_mul_i32 s4, s4, s17
	s_add_i32 s21, s21, 1
	v_add_u32_e32 v6, s4, v1
	s_waitcnt vmcnt(0)
	v_cmp_nlt_f64_e64 s[6:7], |v[13:14]|, |v[11:12]|
	s_and_saveexec_b64 s[22:23], s[6:7]
	s_xor_b64 s[6:7], exec, s[22:23]
	s_cbranch_execnz .LBB4_6
; %bb.5:                                ;   in Loop: Header=BB4_4 Depth=1
	s_andn2_saveexec_b64 s[6:7], s[6:7]
	s_cbranch_execz .LBB4_3
	s_branch .LBB4_7
.LBB4_6:                                ;   in Loop: Header=BB4_4 Depth=1
	s_mul_i32 s22, s21, s17
	s_ashr_i32 s23, s22, 31
	s_lshl_b64 s[22:23], s[22:23], 2
	v_add_co_u32_e32 v15, vcc, s22, v2
	v_mov_b32_e32 v16, s23
	v_addc_co_u32_e32 v16, vcc, v3, v16, vcc
	v_mov_b32_e32 v19, s21
	global_store_dword v[15:16], v19, off
	v_div_scale_f64 v[15:16], s[22:23], v[13:14], v[13:14], v[11:12]
	v_rcp_f64_e32 v[19:20], v[15:16]
	v_fma_f64 v[21:22], -v[15:16], v[19:20], 1.0
	v_fma_f64 v[19:20], v[19:20], v[21:22], v[19:20]
	v_fma_f64 v[21:22], -v[15:16], v[19:20], 1.0
	v_fma_f64 v[19:20], v[19:20], v[21:22], v[19:20]
	v_div_scale_f64 v[21:22], vcc, v[11:12], v[13:14], v[11:12]
	v_mul_f64 v[23:24], v[21:22], v[19:20]
	v_fma_f64 v[15:16], -v[15:16], v[23:24], v[21:22]
	s_nop 1
	v_div_fmas_f64 v[15:16], v[15:16], v[19:20], v[23:24]
	v_div_fixup_f64 v[11:12], v[15:16], v[13:14], v[11:12]
	v_mov_b32_e32 v15, s11
	global_store_dwordx2 v[4:5], v[11:12], off
	v_add_co_u32_e32 v4, vcc, s8, v7
	v_mov_b32_e32 v5, s9
	v_addc_co_u32_e32 v5, vcc, v5, v8, vcc
	v_add_co_u32_e32 v9, vcc, s10, v9
	v_addc_co_u32_e32 v10, vcc, v15, v10, vcc
	global_load_dwordx2 v[13:14], v[4:5], off
                                        ; implicit-def: $vgpr15_vgpr16
	s_nop 0
	global_load_dwordx2 v[9:10], v[9:10], off
	s_waitcnt vmcnt(0)
	v_fma_f64 v[9:10], -v[11:12], v[9:10], v[13:14]
                                        ; implicit-def: $vgpr13_vgpr14
	global_store_dwordx2 v[4:5], v[9:10], off
	v_add_co_u32_e32 v4, vcc, s10, v7
	v_ashrrev_i32_e32 v7, 31, v6
	v_mov_b32_e32 v5, s11
	v_lshlrev_b64 v[6:7], 3, v[6:7]
	v_addc_co_u32_e32 v5, vcc, v5, v8, vcc
	v_add_co_u32_e32 v6, vcc, s12, v6
	v_mov_b32_e32 v10, s13
	v_addc_co_u32_e32 v7, vcc, v10, v7, vcc
	global_load_dwordx2 v[8:9], v[4:5], off
	s_nop 0
	global_load_dwordx2 v[6:7], v[6:7], off
	s_waitcnt vmcnt(0)
	v_fma_f64 v[6:7], -v[11:12], v[6:7], v[8:9]
                                        ; implicit-def: $vgpr9_vgpr10
                                        ; implicit-def: $vgpr11_vgpr12
	global_store_dwordx2 v[4:5], v[6:7], off
                                        ; implicit-def: $vgpr7_vgpr8
                                        ; implicit-def: $vgpr6
                                        ; implicit-def: $vgpr4_vgpr5
	s_andn2_saveexec_b64 s[6:7], s[6:7]
	s_cbranch_execz .LBB4_3
.LBB4_7:                                ;   in Loop: Header=BB4_4 Depth=1
	v_div_scale_f64 v[19:20], s[22:23], v[11:12], v[11:12], v[13:14]
	s_ashr_i32 s5, s4, 31
	s_lshl_b64 s[4:5], s[4:5], 2
	v_rcp_f64_e32 v[21:22], v[19:20]
	v_fma_f64 v[23:24], -v[19:20], v[21:22], 1.0
	v_fma_f64 v[21:22], v[21:22], v[23:24], v[21:22]
	v_fma_f64 v[23:24], -v[19:20], v[21:22], 1.0
	v_fma_f64 v[21:22], v[21:22], v[23:24], v[21:22]
	v_div_scale_f64 v[23:24], vcc, v[13:14], v[11:12], v[13:14]
	v_mul_f64 v[25:26], v[23:24], v[21:22]
	v_fma_f64 v[19:20], -v[19:20], v[25:26], v[23:24]
	v_mov_b32_e32 v24, s3
	s_nop 0
	v_div_fmas_f64 v[19:20], v[19:20], v[21:22], v[25:26]
	v_mov_b32_e32 v22, s3
	v_add_co_u32_e32 v21, vcc, s2, v9
	v_addc_co_u32_e32 v22, vcc, v22, v10, vcc
	v_add_co_u32_e32 v23, vcc, s2, v7
	v_addc_co_u32_e32 v24, vcc, v24, v8, vcc
	global_load_dwordx2 v[25:26], v[23:24], off
	global_load_dwordx2 v[27:28], v[21:22], off
	s_waitcnt vmcnt(1)
	global_store_dwordx2 v[21:22], v[25:26], off
	s_waitcnt vmcnt(1)
	global_store_dwordx2 v[23:24], v[27:28], off
	v_mov_b32_e32 v22, s9
	v_add_co_u32_e32 v21, vcc, s8, v7
	v_addc_co_u32_e32 v22, vcc, v22, v8, vcc
	global_load_dwordx2 v[23:24], v[21:22], off
	v_add_co_u32_e32 v9, vcc, s10, v9
	global_store_dwordx2 v[15:16], v[11:12], off
	v_div_fixup_f64 v[11:12], v[19:20], v[11:12], v[13:14]
	v_mov_b32_e32 v13, s11
	v_addc_co_u32_e32 v10, vcc, v13, v10, vcc
	v_mov_b32_e32 v14, s11
	v_add_co_u32_e32 v13, vcc, s10, v7
	v_ashrrev_i32_e32 v7, 31, v6
	v_addc_co_u32_e32 v14, vcc, v14, v8, vcc
	v_lshlrev_b64 v[7:8], 3, v[6:7]
	v_mov_b32_e32 v15, s13
	v_add_co_u32_e32 v7, vcc, s12, v7
	v_addc_co_u32_e32 v8, vcc, v15, v8, vcc
	v_mov_b32_e32 v16, s5
	v_add_co_u32_e32 v15, vcc, s4, v2
	v_addc_co_u32_e32 v16, vcc, v3, v16, vcc
	v_mov_b32_e32 v19, s21
	global_load_dword v27, v[15:16], off
	s_nop 0
	global_store_dword v[15:16], v19, off
	global_load_dwordx2 v[19:20], v[9:10], off
	s_nop 0
	global_load_dwordx2 v[25:26], v[13:14], off
	v_add_u32_e32 v15, s17, v6
	v_ashrrev_i32_e32 v16, 31, v15
	v_lshlrev_b64 v[15:16], 2, v[15:16]
	v_mov_b32_e32 v6, s15
	v_add_co_u32_e32 v15, vcc, s14, v15
	v_addc_co_u32_e32 v16, vcc, v6, v16, vcc
	s_waitcnt vmcnt(5)
	global_store_dwordx2 v[9:10], v[23:24], off
	global_load_dwordx2 v[23:24], v[7:8], off
	s_waitcnt vmcnt(2)
	global_store_dwordx2 v[7:8], v[25:26], off
	s_waitcnt vmcnt(1)
	global_store_dwordx2 v[13:14], v[23:24], off
	global_load_dwordx2 v[6:7], v[9:10], off
	v_fma_f64 v[8:9], -v[11:12], v[25:26], v[23:24]
	s_waitcnt vmcnt(0)
	v_fma_f64 v[6:7], -v[11:12], v[6:7], v[19:20]
	global_store_dword v[15:16], v27, off
	global_store_dwordx2 v[4:5], v[11:12], off
	global_store_dwordx2 v[21:22], v[6:7], off
	;; [unrolled: 1-line block ×3, first 2 shown]
	s_branch .LBB4_3
.LBB4_8:
	s_mov_b32 s21, 1
	v_mov_b32_e32 v6, 0
	s_branch .LBB4_11
.LBB4_9:                                ;   in Loop: Header=BB4_11 Depth=1
	s_or_b64 exec, exec, s[6:7]
	s_mul_i32 s6, s21, s18
	v_add_u32_e32 v6, s6, v1
	v_ashrrev_i32_e32 v7, 31, v6
	v_lshlrev_b64 v[6:7], 3, v[6:7]
	v_mov_b32_e32 v8, s3
	v_add_co_u32_e32 v6, vcc, s2, v6
	v_addc_co_u32_e32 v7, vcc, v8, v7, vcc
	global_load_dwordx2 v[8:9], v[6:7], off
	s_waitcnt vmcnt(0)
	v_add_f64 v[4:5], v[4:5], v[8:9]
	global_store_dwordx2 v[6:7], v[4:5], off
	v_mov_b32_e32 v6, s21
.LBB4_10:                               ;   in Loop: Header=BB4_11 Depth=1
	s_or_b64 exec, exec, s[4:5]
	s_add_i32 s21, s21, 1
	s_cmp_eq_u32 s21, s16
	s_cbranch_scc1 .LBB4_16
.LBB4_11:                               ; =>This Loop Header: Depth=1
                                        ;     Child Loop BB4_14 Depth 2
	s_mul_i32 s4, s21, s17
	s_ashr_i32 s5, s4, 31
	s_lshl_b64 s[4:5], s[4:5], 2
	v_mov_b32_e32 v5, s5
	v_add_co_u32_e32 v4, vcc, s4, v2
	v_addc_co_u32_e32 v5, vcc, v3, v5, vcc
	global_load_dword v4, v[4:5], off
	s_waitcnt vmcnt(0)
	v_cmp_ge_i32_e32 vcc, s21, v4
	s_and_saveexec_b64 s[4:5], vcc
	s_cbranch_execz .LBB4_10
; %bb.12:                               ;   in Loop: Header=BB4_11 Depth=1
	v_mov_b32_e32 v4, 0
	v_mov_b32_e32 v5, 0
	v_cmp_gt_u32_e32 vcc, s21, v6
	s_and_saveexec_b64 s[6:7], vcc
	s_cbranch_execz .LBB4_9
; %bb.13:                               ;   in Loop: Header=BB4_11 Depth=1
	v_mul_lo_u32 v7, s18, v6
	v_mov_b32_e32 v4, 0
	v_mov_b32_e32 v5, 0
	s_mov_b64 s[14:15], 0
	v_add_u32_e32 v8, s18, v7
	v_mov_b32_e32 v9, v1
.LBB4_14:                               ;   Parent Loop BB4_11 Depth=1
                                        ; =>  This Inner Loop Header: Depth=2
	v_add_u32_e32 v10, v8, v9
	v_ashrrev_i32_e32 v11, 31, v10
	v_add_u32_e32 v12, v7, v9
	v_lshlrev_b64 v[10:11], 3, v[10:11]
	v_ashrrev_i32_e32 v13, 31, v12
	v_mov_b32_e32 v14, s1
	v_lshlrev_b64 v[12:13], 3, v[12:13]
	v_add_co_u32_e32 v10, vcc, s0, v10
	v_addc_co_u32_e32 v11, vcc, v14, v11, vcc
	v_mov_b32_e32 v15, s3
	v_add_co_u32_e32 v12, vcc, s2, v12
	v_addc_co_u32_e32 v13, vcc, v15, v13, vcc
	global_load_dwordx2 v[14:15], v[10:11], off
	global_load_dwordx2 v[16:17], v[12:13], off
	v_add_u32_e32 v6, 1, v6
	v_cmp_le_u32_e32 vcc, s21, v6
	s_or_b64 s[14:15], vcc, s[14:15]
	v_add_u32_e32 v9, s18, v9
	s_waitcnt vmcnt(0)
	v_fma_f64 v[4:5], -v[14:15], v[16:17], v[4:5]
	s_andn2_b64 exec, exec, s[14:15]
	s_cbranch_execnz .LBB4_14
; %bb.15:                               ;   in Loop: Header=BB4_11 Depth=1
	s_or_b64 exec, exec, s[14:15]
	s_branch .LBB4_9
.LBB4_16:
	s_mul_i32 s4, s18, s20
	v_add_u32_e32 v2, s4, v1
	v_ashrrev_i32_e32 v3, 31, v2
	v_lshlrev_b64 v[2:3], 3, v[2:3]
	v_mov_b32_e32 v5, s3
	v_add_co_u32_e32 v4, vcc, s2, v2
	v_addc_co_u32_e32 v5, vcc, v5, v3, vcc
	v_mov_b32_e32 v8, s9
	v_add_co_u32_e32 v2, vcc, s8, v2
	v_addc_co_u32_e32 v3, vcc, v8, v3, vcc
	global_load_dwordx2 v[6:7], v[4:5], off
	s_nop 0
	global_load_dwordx2 v[2:3], v[2:3], off
	s_waitcnt vmcnt(0)
	v_div_scale_f64 v[8:9], s[0:1], v[2:3], v[2:3], v[6:7]
	s_sub_i32 s0, s4, s18
	s_cmp_lt_i32 s16, 3
	v_rcp_f64_e32 v[10:11], v[8:9]
	v_fma_f64 v[12:13], -v[8:9], v[10:11], 1.0
	v_fma_f64 v[10:11], v[10:11], v[12:13], v[10:11]
	v_div_scale_f64 v[12:13], vcc, v[6:7], v[2:3], v[6:7]
	v_fma_f64 v[14:15], -v[8:9], v[10:11], 1.0
	v_fma_f64 v[10:11], v[10:11], v[14:15], v[10:11]
	v_mul_f64 v[14:15], v[12:13], v[10:11]
	v_fma_f64 v[8:9], -v[8:9], v[14:15], v[12:13]
	v_mov_b32_e32 v12, s3
	v_mov_b32_e32 v13, s11
	v_div_fmas_f64 v[8:9], v[8:9], v[10:11], v[14:15]
	v_add_u32_e32 v10, s0, v1
	v_ashrrev_i32_e32 v11, 31, v10
	v_lshlrev_b64 v[10:11], 3, v[10:11]
	v_div_fixup_f64 v[2:3], v[8:9], v[2:3], v[6:7]
	v_add_co_u32_e32 v6, vcc, s2, v10
	v_addc_co_u32_e32 v7, vcc, v12, v11, vcc
	v_add_co_u32_e32 v8, vcc, s10, v10
	v_addc_co_u32_e32 v9, vcc, v13, v11, vcc
	global_store_dwordx2 v[4:5], v[2:3], off
	global_load_dwordx2 v[8:9], v[8:9], off
	v_mov_b32_e32 v12, s9
	global_load_dwordx2 v[4:5], v[6:7], off
	v_add_co_u32_e32 v10, vcc, s8, v10
	v_addc_co_u32_e32 v11, vcc, v12, v11, vcc
	global_load_dwordx2 v[10:11], v[10:11], off
	s_waitcnt vmcnt(1)
	v_fma_f64 v[2:3], -v[2:3], v[8:9], v[4:5]
	s_waitcnt vmcnt(0)
	v_div_scale_f64 v[4:5], s[0:1], v[10:11], v[10:11], v[2:3]
	v_div_scale_f64 v[14:15], vcc, v[2:3], v[10:11], v[2:3]
	v_rcp_f64_e32 v[8:9], v[4:5]
	v_fma_f64 v[12:13], -v[4:5], v[8:9], 1.0
	v_fma_f64 v[8:9], v[8:9], v[12:13], v[8:9]
	v_fma_f64 v[12:13], -v[4:5], v[8:9], 1.0
	v_fma_f64 v[8:9], v[8:9], v[12:13], v[8:9]
	v_mul_f64 v[12:13], v[14:15], v[8:9]
	v_fma_f64 v[4:5], -v[4:5], v[12:13], v[14:15]
	v_div_fmas_f64 v[4:5], v[4:5], v[8:9], v[12:13]
	v_div_fixup_f64 v[2:3], v[4:5], v[10:11], v[2:3]
	global_store_dwordx2 v[6:7], v[2:3], off
	s_cbranch_scc1 .LBB4_19
; %bb.17:
	s_add_i32 s0, s16, -3
	s_mul_i32 s1, s17, s0
	s_add_i32 s5, s16, -2
	s_add_i32 s19, s19, s1
	v_add_u32_e32 v2, s19, v0
	s_mul_i32 s6, s18, s5
	s_mul_i32 s7, s18, s0
.LBB4_18:                               ; =>This Inner Loop Header: Depth=1
	v_add_u32_e32 v4, s7, v1
	v_ashrrev_i32_e32 v3, 31, v2
	v_ashrrev_i32_e32 v5, 31, v4
	v_lshlrev_b64 v[10:11], 3, v[2:3]
	v_lshlrev_b64 v[3:4], 3, v[4:5]
	v_add_u32_e32 v6, s6, v1
	v_mov_b32_e32 v0, s3
	v_add_co_u32_e64 v12, s[0:1], s2, v3
	v_ashrrev_i32_e32 v7, 31, v6
	v_addc_co_u32_e64 v13, s[0:1], v0, v4, s[0:1]
	v_mov_b32_e32 v15, s11
	v_lshlrev_b64 v[5:6], 3, v[6:7]
	v_add_co_u32_e64 v14, s[0:1], s10, v3
	v_addc_co_u32_e64 v15, s[0:1], v15, v4, s[0:1]
	v_add_co_u32_e64 v5, s[0:1], s2, v5
	v_addc_co_u32_e64 v6, s[0:1], v0, v6, s[0:1]
	global_load_dwordx2 v[16:17], v[12:13], off
	global_load_dwordx2 v[18:19], v[14:15], off
	global_load_dwordx2 v[20:21], v[5:6], off
	v_add_u32_e32 v8, s4, v1
	v_ashrrev_i32_e32 v9, 31, v8
	v_mov_b32_e32 v22, s13
	v_lshlrev_b64 v[7:8], 3, v[8:9]
	v_add_co_u32_e32 v9, vcc, s12, v10
	v_addc_co_u32_e32 v10, vcc, v22, v11, vcc
	v_add_co_u32_e32 v7, vcc, s2, v7
	v_addc_co_u32_e32 v8, vcc, v0, v8, vcc
	global_load_dwordx2 v[5:6], v[9:10], off
	v_mov_b32_e32 v0, s9
	global_load_dwordx2 v[7:8], v[7:8], off
	v_add_co_u32_e32 v3, vcc, s8, v3
	v_addc_co_u32_e32 v4, vcc, v0, v4, vcc
	global_load_dwordx2 v[3:4], v[3:4], off
	s_add_i32 s5, s5, -1
	v_subrev_u32_e32 v1, s18, v1
	v_subrev_u32_e32 v2, s17, v2
	s_cmp_lg_u32 s5, 0
	s_waitcnt vmcnt(3)
	v_fma_f64 v[9:10], -v[18:19], v[20:21], v[16:17]
	s_waitcnt vmcnt(1)
	v_fma_f64 v[5:6], -v[5:6], v[7:8], v[9:10]
	s_waitcnt vmcnt(0)
	v_div_scale_f64 v[7:8], s[0:1], v[3:4], v[3:4], v[5:6]
	v_rcp_f64_e32 v[9:10], v[7:8]
	v_fma_f64 v[14:15], -v[7:8], v[9:10], 1.0
	v_fma_f64 v[9:10], v[9:10], v[14:15], v[9:10]
	v_div_scale_f64 v[14:15], vcc, v[5:6], v[3:4], v[5:6]
	v_fma_f64 v[16:17], -v[7:8], v[9:10], 1.0
	v_fma_f64 v[9:10], v[9:10], v[16:17], v[9:10]
	v_mul_f64 v[16:17], v[14:15], v[9:10]
	v_fma_f64 v[7:8], -v[7:8], v[16:17], v[14:15]
	v_div_fmas_f64 v[7:8], v[7:8], v[9:10], v[16:17]
	v_div_fixup_f64 v[3:4], v[7:8], v[3:4], v[5:6]
	global_store_dwordx2 v[12:13], v[3:4], off
	s_cbranch_scc1 .LBB4_18
.LBB4_19:
	s_endpgm
	.section	.rodata,"a",@progbits
	.p2align	6, 0x0
	.amdhsa_kernel _ZN9rocsparseL32gtsv_interleaved_batch_lu_kernelILj128EdEEviiiPT0_S2_S2_S2_PiS2_
		.amdhsa_group_segment_fixed_size 0
		.amdhsa_private_segment_fixed_size 0
		.amdhsa_kernarg_size 64
		.amdhsa_user_sgpr_count 6
		.amdhsa_user_sgpr_private_segment_buffer 1
		.amdhsa_user_sgpr_dispatch_ptr 0
		.amdhsa_user_sgpr_queue_ptr 0
		.amdhsa_user_sgpr_kernarg_segment_ptr 1
		.amdhsa_user_sgpr_dispatch_id 0
		.amdhsa_user_sgpr_flat_scratch_init 0
		.amdhsa_user_sgpr_private_segment_size 0
		.amdhsa_uses_dynamic_stack 0
		.amdhsa_system_sgpr_private_segment_wavefront_offset 0
		.amdhsa_system_sgpr_workgroup_id_x 1
		.amdhsa_system_sgpr_workgroup_id_y 0
		.amdhsa_system_sgpr_workgroup_id_z 0
		.amdhsa_system_sgpr_workgroup_info 0
		.amdhsa_system_vgpr_workitem_id 0
		.amdhsa_next_free_vgpr 29
		.amdhsa_next_free_sgpr 24
		.amdhsa_reserve_vcc 1
		.amdhsa_reserve_flat_scratch 0
		.amdhsa_float_round_mode_32 0
		.amdhsa_float_round_mode_16_64 0
		.amdhsa_float_denorm_mode_32 3
		.amdhsa_float_denorm_mode_16_64 3
		.amdhsa_dx10_clamp 1
		.amdhsa_ieee_mode 1
		.amdhsa_fp16_overflow 0
		.amdhsa_exception_fp_ieee_invalid_op 0
		.amdhsa_exception_fp_denorm_src 0
		.amdhsa_exception_fp_ieee_div_zero 0
		.amdhsa_exception_fp_ieee_overflow 0
		.amdhsa_exception_fp_ieee_underflow 0
		.amdhsa_exception_fp_ieee_inexact 0
		.amdhsa_exception_int_div_zero 0
	.end_amdhsa_kernel
	.section	.text._ZN9rocsparseL32gtsv_interleaved_batch_lu_kernelILj128EdEEviiiPT0_S2_S2_S2_PiS2_,"axG",@progbits,_ZN9rocsparseL32gtsv_interleaved_batch_lu_kernelILj128EdEEviiiPT0_S2_S2_S2_PiS2_,comdat
.Lfunc_end4:
	.size	_ZN9rocsparseL32gtsv_interleaved_batch_lu_kernelILj128EdEEviiiPT0_S2_S2_S2_PiS2_, .Lfunc_end4-_ZN9rocsparseL32gtsv_interleaved_batch_lu_kernelILj128EdEEviiiPT0_S2_S2_S2_PiS2_
                                        ; -- End function
	.set _ZN9rocsparseL32gtsv_interleaved_batch_lu_kernelILj128EdEEviiiPT0_S2_S2_S2_PiS2_.num_vgpr, 29
	.set _ZN9rocsparseL32gtsv_interleaved_batch_lu_kernelILj128EdEEviiiPT0_S2_S2_S2_PiS2_.num_agpr, 0
	.set _ZN9rocsparseL32gtsv_interleaved_batch_lu_kernelILj128EdEEviiiPT0_S2_S2_S2_PiS2_.numbered_sgpr, 24
	.set _ZN9rocsparseL32gtsv_interleaved_batch_lu_kernelILj128EdEEviiiPT0_S2_S2_S2_PiS2_.num_named_barrier, 0
	.set _ZN9rocsparseL32gtsv_interleaved_batch_lu_kernelILj128EdEEviiiPT0_S2_S2_S2_PiS2_.private_seg_size, 0
	.set _ZN9rocsparseL32gtsv_interleaved_batch_lu_kernelILj128EdEEviiiPT0_S2_S2_S2_PiS2_.uses_vcc, 1
	.set _ZN9rocsparseL32gtsv_interleaved_batch_lu_kernelILj128EdEEviiiPT0_S2_S2_S2_PiS2_.uses_flat_scratch, 0
	.set _ZN9rocsparseL32gtsv_interleaved_batch_lu_kernelILj128EdEEviiiPT0_S2_S2_S2_PiS2_.has_dyn_sized_stack, 0
	.set _ZN9rocsparseL32gtsv_interleaved_batch_lu_kernelILj128EdEEviiiPT0_S2_S2_S2_PiS2_.has_recursion, 0
	.set _ZN9rocsparseL32gtsv_interleaved_batch_lu_kernelILj128EdEEviiiPT0_S2_S2_S2_PiS2_.has_indirect_call, 0
	.section	.AMDGPU.csdata,"",@progbits
; Kernel info:
; codeLenInByte = 2000
; TotalNumSgprs: 28
; NumVgprs: 29
; ScratchSize: 0
; MemoryBound: 0
; FloatMode: 240
; IeeeMode: 1
; LDSByteSize: 0 bytes/workgroup (compile time only)
; SGPRBlocks: 3
; VGPRBlocks: 7
; NumSGPRsForWavesPerEU: 28
; NumVGPRsForWavesPerEU: 29
; Occupancy: 8
; WaveLimiterHint : 0
; COMPUTE_PGM_RSRC2:SCRATCH_EN: 0
; COMPUTE_PGM_RSRC2:USER_SGPR: 6
; COMPUTE_PGM_RSRC2:TRAP_HANDLER: 0
; COMPUTE_PGM_RSRC2:TGID_X_EN: 1
; COMPUTE_PGM_RSRC2:TGID_Y_EN: 0
; COMPUTE_PGM_RSRC2:TGID_Z_EN: 0
; COMPUTE_PGM_RSRC2:TIDIG_COMP_CNT: 0
	.section	.text._ZN9rocsparseL32gtsv_interleaved_batch_qr_kernelILj128EdEEviiiPKT0_PS1_S4_S4_S4_,"axG",@progbits,_ZN9rocsparseL32gtsv_interleaved_batch_qr_kernelILj128EdEEviiiPKT0_PS1_S4_S4_S4_,comdat
	.globl	_ZN9rocsparseL32gtsv_interleaved_batch_qr_kernelILj128EdEEviiiPKT0_PS1_S4_S4_S4_ ; -- Begin function _ZN9rocsparseL32gtsv_interleaved_batch_qr_kernelILj128EdEEviiiPKT0_PS1_S4_S4_S4_
	.p2align	8
	.type	_ZN9rocsparseL32gtsv_interleaved_batch_qr_kernelILj128EdEEviiiPKT0_PS1_S4_S4_S4_,@function
_ZN9rocsparseL32gtsv_interleaved_batch_qr_kernelILj128EdEEviiiPKT0_PS1_S4_S4_S4_: ; @_ZN9rocsparseL32gtsv_interleaved_batch_qr_kernelILj128EdEEviiiPKT0_PS1_S4_S4_S4_
; %bb.0:
	s_load_dwordx4 s[16:19], s[4:5], 0x0
	s_lshl_b32 s6, s6, 7
	v_or_b32_e32 v1, s6, v0
	s_waitcnt lgkmcnt(0)
	v_cmp_gt_i32_e32 vcc, s17, v1
	s_and_saveexec_b64 s[0:1], vcc
	s_cbranch_execz .LBB5_7
; %bb.1:
	s_load_dwordx8 s[8:15], s[4:5], 0x18
	s_add_i32 s7, s16, -1
	s_cmp_lt_i32 s16, 2
	s_cbranch_scc1 .LBB5_4
; %bb.2:
	v_ashrrev_i32_e32 v2, 31, v1
	v_lshlrev_b64 v[4:5], 3, v[1:2]
	s_waitcnt lgkmcnt(0)
	v_mov_b32_e32 v12, s9
	v_add_co_u32_e32 v2, vcc, s8, v4
	v_addc_co_u32_e32 v3, vcc, v12, v5, vcc
	global_load_dwordx2 v[6:7], v[2:3], off
	v_mov_b32_e32 v13, s11
	v_add_co_u32_e32 v2, vcc, s10, v4
	v_addc_co_u32_e32 v3, vcc, v13, v5, vcc
	v_mov_b32_e32 v14, s15
	v_add_co_u32_e32 v4, vcc, s14, v4
	v_addc_co_u32_e32 v5, vcc, v14, v5, vcc
	global_load_dwordx2 v[2:3], v[2:3], off
	s_load_dwordx2 s[0:1], s[4:5], 0x10
	global_load_dwordx2 v[4:5], v[4:5], off
	s_mov_b32 s2, 0
	s_brev_b32 s3, 8
	v_mov_b32_e32 v16, 0x260
	s_waitcnt lgkmcnt(0)
	v_mov_b32_e32 v15, s1
	v_mov_b32_e32 v17, s13
	;; [unrolled: 1-line block ×3, first 2 shown]
	s_mov_b32 s1, s7
	v_mov_b32_e32 v8, v1
.LBB5_3:                                ; =>This Inner Loop Header: Depth=1
	v_add_u32_e32 v18, s18, v10
	v_ashrrev_i32_e32 v19, 31, v18
	v_lshlrev_b64 v[22:23], 3, v[18:19]
	s_waitcnt vmcnt(2)
	v_mul_f64 v[20:21], v[6:7], v[6:7]
	v_add_co_u32_e32 v24, vcc, s0, v22
	v_addc_co_u32_e32 v25, vcc, v15, v23, vcc
	global_load_dwordx2 v[24:25], v[24:25], off
	v_mov_b32_e32 v9, 0x100
	v_mov_b32_e32 v11, 0xffffff80
	s_add_i32 s1, s1, -1
	s_cmp_eq_u32 s1, 0
	s_waitcnt vmcnt(0)
	v_fma_f64 v[19:20], v[24:25], v[24:25], v[20:21]
	v_cmp_gt_f64_e32 vcc, s[2:3], v[19:20]
	v_cndmask_b32_e32 v9, 0, v9, vcc
	v_ldexp_f64 v[19:20], v[19:20], v9
	v_cndmask_b32_e32 v9, 0, v11, vcc
	v_ashrrev_i32_e32 v11, 31, v10
	v_rsq_f64_e32 v[26:27], v[19:20]
	v_cmp_class_f64_e32 vcc, v[19:20], v16
	v_mul_f64 v[28:29], v[19:20], v[26:27]
	v_mul_f64 v[26:27], v[26:27], 0.5
	v_fma_f64 v[30:31], -v[26:27], v[28:29], 0.5
	v_fma_f64 v[28:29], v[28:29], v[30:31], v[28:29]
	v_fma_f64 v[26:27], v[26:27], v[30:31], v[26:27]
	v_fma_f64 v[30:31], -v[28:29], v[28:29], v[19:20]
	v_fma_f64 v[28:29], v[30:31], v[26:27], v[28:29]
	v_fma_f64 v[30:31], -v[28:29], v[28:29], v[19:20]
	v_fma_f64 v[26:27], v[30:31], v[26:27], v[28:29]
	v_ldexp_f64 v[26:27], v[26:27], v9
	v_ashrrev_i32_e32 v9, 31, v8
	v_cndmask_b32_e32 v20, v27, v20, vcc
	v_cndmask_b32_e32 v19, v26, v19, vcc
	v_div_scale_f64 v[26:27], s[4:5], v[19:20], v[19:20], v[6:7]
	v_div_scale_f64 v[28:29], vcc, v[6:7], v[19:20], v[6:7]
	v_rcp_f64_e32 v[30:31], v[26:27]
	v_fma_f64 v[32:33], -v[26:27], v[30:31], 1.0
	v_fma_f64 v[30:31], v[30:31], v[32:33], v[30:31]
	v_fma_f64 v[32:33], -v[26:27], v[30:31], 1.0
	v_fma_f64 v[30:31], v[30:31], v[32:33], v[30:31]
	v_mul_f64 v[32:33], v[28:29], v[30:31]
	v_fma_f64 v[26:27], -v[26:27], v[32:33], v[28:29]
	v_div_scale_f64 v[28:29], s[4:5], v[19:20], v[19:20], v[24:25]
	v_div_fmas_f64 v[26:27], v[26:27], v[30:31], v[32:33]
	v_rcp_f64_e32 v[30:31], v[28:29]
	v_fma_f64 v[32:33], -v[28:29], v[30:31], 1.0
	v_fma_f64 v[30:31], v[30:31], v[32:33], v[30:31]
	v_fma_f64 v[32:33], -v[28:29], v[30:31], 1.0
	v_fma_f64 v[30:31], v[30:31], v[32:33], v[30:31]
	v_div_scale_f64 v[32:33], vcc, v[24:25], v[19:20], v[24:25]
	v_mul_f64 v[34:35], v[32:33], v[30:31]
	v_fma_f64 v[28:29], -v[28:29], v[34:35], v[32:33]
	s_nop 1
	v_div_fmas_f64 v[28:29], v[28:29], v[30:31], v[34:35]
	v_lshlrev_b64 v[30:31], 3, v[8:9]
	v_add_u32_e32 v8, s17, v8
	v_add_co_u32_e32 v30, vcc, s12, v30
	v_addc_co_u32_e32 v31, vcc, v17, v31, vcc
	v_add_co_u32_e32 v32, vcc, s10, v22
	v_addc_co_u32_e32 v33, vcc, v13, v23, vcc
	global_load_dwordx2 v[34:35], v[32:33], off
	v_div_fixup_f64 v[28:29], v[28:29], v[19:20], v[24:25]
	v_div_fixup_f64 v[19:20], v[26:27], v[19:20], v[6:7]
	v_mul_f64 v[24:25], v[24:25], v[28:29]
	v_fma_f64 v[6:7], v[6:7], v[19:20], v[24:25]
	s_waitcnt vmcnt(0)
	v_mul_f64 v[36:37], v[34:35], v[28:29]
	global_store_dwordx2 v[30:31], v[36:37], off
	v_lshlrev_b64 v[30:31], 3, v[10:11]
	v_add_co_u32_e32 v9, vcc, s8, v30
	v_addc_co_u32_e32 v10, vcc, v12, v31, vcc
	v_add_co_u32_e32 v24, vcc, s8, v22
	v_addc_co_u32_e32 v25, vcc, v12, v23, vcc
	;; [unrolled: 2-line block ×3, first 2 shown]
	global_load_dwordx2 v[26:27], v[24:25], off
	s_nop 0
	global_store_dwordx2 v[9:10], v[6:7], off
	global_load_dwordx2 v[6:7], v[21:22], off
	s_waitcnt vmcnt(0)
	v_mul_f64 v[9:10], v[19:20], v[6:7]
	v_mul_f64 v[6:7], v[28:29], v[6:7]
	v_fma_f64 v[36:37], v[4:5], v[19:20], v[6:7]
	v_mul_f64 v[6:7], v[26:27], v[19:20]
	v_mul_f64 v[26:27], v[26:27], v[28:29]
	v_fma_f64 v[4:5], -v[4:5], v[28:29], v[9:10]
	v_mov_b32_e32 v10, v18
	v_fma_f64 v[6:7], -v[2:3], v[28:29], v[6:7]
	v_fma_f64 v[26:27], v[2:3], v[19:20], v[26:27]
	v_mul_f64 v[2:3], v[34:35], v[19:20]
	v_add_co_u32_e32 v28, vcc, s10, v30
	v_addc_co_u32_e32 v29, vcc, v13, v31, vcc
	v_add_co_u32_e32 v18, vcc, s14, v30
	v_addc_co_u32_e32 v19, vcc, v14, v31, vcc
	global_store_dwordx2 v[28:29], v[26:27], off
	global_store_dwordx2 v[18:19], v[36:37], off
	;; [unrolled: 1-line block ×5, first 2 shown]
	s_cbranch_scc0 .LBB5_3
.LBB5_4:
	s_mul_i32 s2, s18, s7
	v_add_u32_e32 v2, s2, v1
	v_ashrrev_i32_e32 v3, 31, v2
	v_lshlrev_b64 v[2:3], 3, v[2:3]
	s_waitcnt lgkmcnt(0)
	v_mov_b32_e32 v5, s15
	v_add_co_u32_e32 v4, vcc, s14, v2
	v_addc_co_u32_e32 v5, vcc, v5, v3, vcc
	v_mov_b32_e32 v8, s9
	v_add_co_u32_e32 v2, vcc, s8, v2
	v_addc_co_u32_e32 v3, vcc, v8, v3, vcc
	global_load_dwordx2 v[6:7], v[4:5], off
	s_nop 0
	global_load_dwordx2 v[2:3], v[2:3], off
	s_waitcnt vmcnt(0)
	v_div_scale_f64 v[8:9], s[0:1], v[2:3], v[2:3], v[6:7]
	s_sub_i32 s0, s2, s18
	s_cmp_lt_i32 s16, 3
	v_rcp_f64_e32 v[10:11], v[8:9]
	v_fma_f64 v[12:13], -v[8:9], v[10:11], 1.0
	v_fma_f64 v[10:11], v[10:11], v[12:13], v[10:11]
	v_div_scale_f64 v[12:13], vcc, v[6:7], v[2:3], v[6:7]
	v_fma_f64 v[14:15], -v[8:9], v[10:11], 1.0
	v_fma_f64 v[10:11], v[10:11], v[14:15], v[10:11]
	v_mul_f64 v[14:15], v[12:13], v[10:11]
	v_fma_f64 v[8:9], -v[8:9], v[14:15], v[12:13]
	v_mov_b32_e32 v12, s15
	v_mov_b32_e32 v13, s11
	v_div_fmas_f64 v[8:9], v[8:9], v[10:11], v[14:15]
	v_add_u32_e32 v10, s0, v1
	v_ashrrev_i32_e32 v11, 31, v10
	v_lshlrev_b64 v[10:11], 3, v[10:11]
	v_div_fixup_f64 v[2:3], v[8:9], v[2:3], v[6:7]
	v_add_co_u32_e32 v6, vcc, s14, v10
	v_addc_co_u32_e32 v7, vcc, v12, v11, vcc
	v_add_co_u32_e32 v8, vcc, s10, v10
	v_addc_co_u32_e32 v9, vcc, v13, v11, vcc
	global_store_dwordx2 v[4:5], v[2:3], off
	global_load_dwordx2 v[8:9], v[8:9], off
	v_mov_b32_e32 v12, s9
	global_load_dwordx2 v[4:5], v[6:7], off
	v_add_co_u32_e32 v10, vcc, s8, v10
	v_addc_co_u32_e32 v11, vcc, v12, v11, vcc
	global_load_dwordx2 v[10:11], v[10:11], off
	s_waitcnt vmcnt(1)
	v_fma_f64 v[2:3], -v[2:3], v[8:9], v[4:5]
	s_waitcnt vmcnt(0)
	v_div_scale_f64 v[4:5], s[0:1], v[10:11], v[10:11], v[2:3]
	v_div_scale_f64 v[14:15], vcc, v[2:3], v[10:11], v[2:3]
	v_rcp_f64_e32 v[8:9], v[4:5]
	v_fma_f64 v[12:13], -v[4:5], v[8:9], 1.0
	v_fma_f64 v[8:9], v[8:9], v[12:13], v[8:9]
	v_fma_f64 v[12:13], -v[4:5], v[8:9], 1.0
	v_fma_f64 v[8:9], v[8:9], v[12:13], v[8:9]
	v_mul_f64 v[12:13], v[14:15], v[8:9]
	v_fma_f64 v[4:5], -v[4:5], v[12:13], v[14:15]
	v_div_fmas_f64 v[4:5], v[4:5], v[8:9], v[12:13]
	v_div_fixup_f64 v[2:3], v[4:5], v[10:11], v[2:3]
	global_store_dwordx2 v[6:7], v[2:3], off
	s_cbranch_scc1 .LBB5_7
; %bb.5:
	s_add_i32 s0, s16, -3
	s_mul_i32 s1, s17, s0
	s_add_i32 s3, s16, -2
	s_add_i32 s6, s6, s1
	v_add_u32_e32 v2, s6, v0
	s_mul_i32 s4, s18, s3
	s_mul_i32 s5, s18, s0
.LBB5_6:                                ; =>This Inner Loop Header: Depth=1
	v_add_u32_e32 v4, s5, v1
	v_ashrrev_i32_e32 v3, 31, v2
	v_ashrrev_i32_e32 v5, 31, v4
	v_lshlrev_b64 v[10:11], 3, v[2:3]
	v_lshlrev_b64 v[3:4], 3, v[4:5]
	v_add_u32_e32 v6, s4, v1
	v_mov_b32_e32 v0, s15
	v_add_co_u32_e64 v12, s[0:1], s14, v3
	v_ashrrev_i32_e32 v7, 31, v6
	v_addc_co_u32_e64 v13, s[0:1], v0, v4, s[0:1]
	v_mov_b32_e32 v15, s11
	v_lshlrev_b64 v[5:6], 3, v[6:7]
	v_add_co_u32_e64 v14, s[0:1], s10, v3
	v_addc_co_u32_e64 v15, s[0:1], v15, v4, s[0:1]
	v_add_co_u32_e64 v5, s[0:1], s14, v5
	v_addc_co_u32_e64 v6, s[0:1], v0, v6, s[0:1]
	global_load_dwordx2 v[16:17], v[12:13], off
	global_load_dwordx2 v[18:19], v[14:15], off
	;; [unrolled: 1-line block ×3, first 2 shown]
	v_add_u32_e32 v8, s2, v1
	v_ashrrev_i32_e32 v9, 31, v8
	v_mov_b32_e32 v22, s13
	v_lshlrev_b64 v[7:8], 3, v[8:9]
	v_add_co_u32_e32 v9, vcc, s12, v10
	v_addc_co_u32_e32 v10, vcc, v22, v11, vcc
	v_add_co_u32_e32 v7, vcc, s14, v7
	v_addc_co_u32_e32 v8, vcc, v0, v8, vcc
	global_load_dwordx2 v[5:6], v[9:10], off
	v_mov_b32_e32 v0, s9
	global_load_dwordx2 v[7:8], v[7:8], off
	v_add_co_u32_e32 v3, vcc, s8, v3
	v_addc_co_u32_e32 v4, vcc, v0, v4, vcc
	global_load_dwordx2 v[3:4], v[3:4], off
	s_add_i32 s3, s3, -1
	v_subrev_u32_e32 v1, s18, v1
	v_subrev_u32_e32 v2, s17, v2
	s_cmp_lg_u32 s3, 0
	s_waitcnt vmcnt(3)
	v_fma_f64 v[9:10], -v[18:19], v[20:21], v[16:17]
	s_waitcnt vmcnt(1)
	v_fma_f64 v[5:6], -v[5:6], v[7:8], v[9:10]
	s_waitcnt vmcnt(0)
	v_div_scale_f64 v[7:8], s[0:1], v[3:4], v[3:4], v[5:6]
	v_rcp_f64_e32 v[9:10], v[7:8]
	v_fma_f64 v[14:15], -v[7:8], v[9:10], 1.0
	v_fma_f64 v[9:10], v[9:10], v[14:15], v[9:10]
	v_div_scale_f64 v[14:15], vcc, v[5:6], v[3:4], v[5:6]
	v_fma_f64 v[16:17], -v[7:8], v[9:10], 1.0
	v_fma_f64 v[9:10], v[9:10], v[16:17], v[9:10]
	v_mul_f64 v[16:17], v[14:15], v[9:10]
	v_fma_f64 v[7:8], -v[7:8], v[16:17], v[14:15]
	v_div_fmas_f64 v[7:8], v[7:8], v[9:10], v[16:17]
	v_div_fixup_f64 v[3:4], v[7:8], v[3:4], v[5:6]
	global_store_dwordx2 v[12:13], v[3:4], off
	s_cbranch_scc1 .LBB5_6
.LBB5_7:
	s_endpgm
	.section	.rodata,"a",@progbits
	.p2align	6, 0x0
	.amdhsa_kernel _ZN9rocsparseL32gtsv_interleaved_batch_qr_kernelILj128EdEEviiiPKT0_PS1_S4_S4_S4_
		.amdhsa_group_segment_fixed_size 0
		.amdhsa_private_segment_fixed_size 0
		.amdhsa_kernarg_size 56
		.amdhsa_user_sgpr_count 6
		.amdhsa_user_sgpr_private_segment_buffer 1
		.amdhsa_user_sgpr_dispatch_ptr 0
		.amdhsa_user_sgpr_queue_ptr 0
		.amdhsa_user_sgpr_kernarg_segment_ptr 1
		.amdhsa_user_sgpr_dispatch_id 0
		.amdhsa_user_sgpr_flat_scratch_init 0
		.amdhsa_user_sgpr_private_segment_size 0
		.amdhsa_uses_dynamic_stack 0
		.amdhsa_system_sgpr_private_segment_wavefront_offset 0
		.amdhsa_system_sgpr_workgroup_id_x 1
		.amdhsa_system_sgpr_workgroup_id_y 0
		.amdhsa_system_sgpr_workgroup_id_z 0
		.amdhsa_system_sgpr_workgroup_info 0
		.amdhsa_system_vgpr_workitem_id 0
		.amdhsa_next_free_vgpr 38
		.amdhsa_next_free_sgpr 20
		.amdhsa_reserve_vcc 1
		.amdhsa_reserve_flat_scratch 0
		.amdhsa_float_round_mode_32 0
		.amdhsa_float_round_mode_16_64 0
		.amdhsa_float_denorm_mode_32 3
		.amdhsa_float_denorm_mode_16_64 3
		.amdhsa_dx10_clamp 1
		.amdhsa_ieee_mode 1
		.amdhsa_fp16_overflow 0
		.amdhsa_exception_fp_ieee_invalid_op 0
		.amdhsa_exception_fp_denorm_src 0
		.amdhsa_exception_fp_ieee_div_zero 0
		.amdhsa_exception_fp_ieee_overflow 0
		.amdhsa_exception_fp_ieee_underflow 0
		.amdhsa_exception_fp_ieee_inexact 0
		.amdhsa_exception_int_div_zero 0
	.end_amdhsa_kernel
	.section	.text._ZN9rocsparseL32gtsv_interleaved_batch_qr_kernelILj128EdEEviiiPKT0_PS1_S4_S4_S4_,"axG",@progbits,_ZN9rocsparseL32gtsv_interleaved_batch_qr_kernelILj128EdEEviiiPKT0_PS1_S4_S4_S4_,comdat
.Lfunc_end5:
	.size	_ZN9rocsparseL32gtsv_interleaved_batch_qr_kernelILj128EdEEviiiPKT0_PS1_S4_S4_S4_, .Lfunc_end5-_ZN9rocsparseL32gtsv_interleaved_batch_qr_kernelILj128EdEEviiiPKT0_PS1_S4_S4_S4_
                                        ; -- End function
	.set _ZN9rocsparseL32gtsv_interleaved_batch_qr_kernelILj128EdEEviiiPKT0_PS1_S4_S4_S4_.num_vgpr, 38
	.set _ZN9rocsparseL32gtsv_interleaved_batch_qr_kernelILj128EdEEviiiPKT0_PS1_S4_S4_S4_.num_agpr, 0
	.set _ZN9rocsparseL32gtsv_interleaved_batch_qr_kernelILj128EdEEviiiPKT0_PS1_S4_S4_S4_.numbered_sgpr, 20
	.set _ZN9rocsparseL32gtsv_interleaved_batch_qr_kernelILj128EdEEviiiPKT0_PS1_S4_S4_S4_.num_named_barrier, 0
	.set _ZN9rocsparseL32gtsv_interleaved_batch_qr_kernelILj128EdEEviiiPKT0_PS1_S4_S4_S4_.private_seg_size, 0
	.set _ZN9rocsparseL32gtsv_interleaved_batch_qr_kernelILj128EdEEviiiPKT0_PS1_S4_S4_S4_.uses_vcc, 1
	.set _ZN9rocsparseL32gtsv_interleaved_batch_qr_kernelILj128EdEEviiiPKT0_PS1_S4_S4_S4_.uses_flat_scratch, 0
	.set _ZN9rocsparseL32gtsv_interleaved_batch_qr_kernelILj128EdEEviiiPKT0_PS1_S4_S4_S4_.has_dyn_sized_stack, 0
	.set _ZN9rocsparseL32gtsv_interleaved_batch_qr_kernelILj128EdEEviiiPKT0_PS1_S4_S4_S4_.has_recursion, 0
	.set _ZN9rocsparseL32gtsv_interleaved_batch_qr_kernelILj128EdEEviiiPKT0_PS1_S4_S4_S4_.has_indirect_call, 0
	.section	.AMDGPU.csdata,"",@progbits
; Kernel info:
; codeLenInByte = 1552
; TotalNumSgprs: 24
; NumVgprs: 38
; ScratchSize: 0
; MemoryBound: 0
; FloatMode: 240
; IeeeMode: 1
; LDSByteSize: 0 bytes/workgroup (compile time only)
; SGPRBlocks: 2
; VGPRBlocks: 9
; NumSGPRsForWavesPerEU: 24
; NumVGPRsForWavesPerEU: 38
; Occupancy: 6
; WaveLimiterHint : 0
; COMPUTE_PGM_RSRC2:SCRATCH_EN: 0
; COMPUTE_PGM_RSRC2:USER_SGPR: 6
; COMPUTE_PGM_RSRC2:TRAP_HANDLER: 0
; COMPUTE_PGM_RSRC2:TGID_X_EN: 1
; COMPUTE_PGM_RSRC2:TGID_Y_EN: 0
; COMPUTE_PGM_RSRC2:TGID_Z_EN: 0
; COMPUTE_PGM_RSRC2:TIDIG_COMP_CNT: 0
	.section	.text._ZN9rocsparseL36gtsv_interleaved_batch_thomas_kernelILj128E21rocsparse_complex_numIfEEEviiiPKT0_S5_S5_PS3_S6_S6_,"axG",@progbits,_ZN9rocsparseL36gtsv_interleaved_batch_thomas_kernelILj128E21rocsparse_complex_numIfEEEviiiPKT0_S5_S5_PS3_S6_S6_,comdat
	.globl	_ZN9rocsparseL36gtsv_interleaved_batch_thomas_kernelILj128E21rocsparse_complex_numIfEEEviiiPKT0_S5_S5_PS3_S6_S6_ ; -- Begin function _ZN9rocsparseL36gtsv_interleaved_batch_thomas_kernelILj128E21rocsparse_complex_numIfEEEviiiPKT0_S5_S5_PS3_S6_S6_
	.p2align	8
	.type	_ZN9rocsparseL36gtsv_interleaved_batch_thomas_kernelILj128E21rocsparse_complex_numIfEEEviiiPKT0_S5_S5_PS3_S6_S6_,@function
_ZN9rocsparseL36gtsv_interleaved_batch_thomas_kernelILj128E21rocsparse_complex_numIfEEEviiiPKT0_S5_S5_PS3_S6_S6_: ; @_ZN9rocsparseL36gtsv_interleaved_batch_thomas_kernelILj128E21rocsparse_complex_numIfEEEviiiPKT0_S5_S5_PS3_S6_S6_
; %bb.0:
	s_load_dwordx4 s[16:19], s[4:5], 0x0
	s_lshl_b32 s2, s6, 7
	v_or_b32_e32 v1, s2, v0
	s_waitcnt lgkmcnt(0)
	v_cmp_gt_i32_e32 vcc, s17, v1
	s_and_saveexec_b64 s[0:1], vcc
	s_cbranch_execz .LBB6_9
; %bb.1:
	s_load_dwordx8 s[8:15], s[4:5], 0x18
	v_ashrrev_i32_e32 v2, 31, v1
	v_lshlrev_b64 v[8:9], 3, v[1:2]
	s_load_dwordx2 s[6:7], s[4:5], 0x38
	s_cmp_gt_i32 s16, 1
	s_waitcnt lgkmcnt(0)
	v_mov_b32_e32 v2, s9
	v_add_co_u32_e32 v1, vcc, s8, v8
	v_addc_co_u32_e32 v2, vcc, v2, v9, vcc
	global_load_dwordx2 v[10:11], v[1:2], off
	v_mov_b32_e32 v2, s11
	v_add_co_u32_e32 v1, vcc, s10, v8
	v_addc_co_u32_e32 v2, vcc, v2, v9, vcc
	v_mov_b32_e32 v3, s7
	global_load_dwordx2 v[12:13], v[1:2], off
	v_add_co_u32_e32 v1, vcc, s6, v8
	v_addc_co_u32_e32 v2, vcc, v3, v9, vcc
	global_load_dwordx2 v[14:15], v[1:2], off
	v_mov_b32_e32 v6, s13
	v_mov_b32_e32 v16, s15
	s_cselect_b64 s[20:21], -1, 0
	s_waitcnt vmcnt(2)
	v_mul_f32_e32 v7, v11, v11
	v_fmac_f32_e32 v7, v10, v10
	v_div_scale_f32 v3, s[0:1], v7, v7, 1.0
	v_div_scale_f32 v4, vcc, 1.0, v7, 1.0
	s_and_b64 s[0:1], exec, s[20:21]
	s_waitcnt vmcnt(0)
	v_mul_f32_e32 v19, v11, v15
	v_mul_f32_e64 v20, v11, -v14
	v_fmac_f32_e32 v19, v14, v10
	v_fmac_f32_e32 v20, v15, v10
	v_rcp_f32_e32 v5, v3
	v_fma_f32 v17, -v3, v5, 1.0
	v_fmac_f32_e32 v5, v17, v5
	v_mul_f32_e32 v17, v4, v5
	v_fma_f32 v18, -v3, v17, v4
	v_fmac_f32_e32 v17, v18, v5
	v_fma_f32 v3, -v3, v17, v4
	v_div_fmas_f32 v17, v3, v5, v17
	v_add_co_u32_e32 v3, vcc, s12, v8
	v_addc_co_u32_e32 v4, vcc, v6, v9, vcc
	v_add_co_u32_e32 v5, vcc, s14, v8
	v_addc_co_u32_e32 v6, vcc, v16, v9, vcc
	v_mul_f32_e32 v16, v11, v13
	v_mul_f32_e64 v18, v11, -v12
	v_fmac_f32_e32 v16, v12, v10
	v_fmac_f32_e32 v18, v13, v10
	s_mov_b64 vcc, s[0:1]
	v_div_fixup_f32 v7, v17, v7, 1.0
	v_mul_f32_e32 v10, v7, v16
	v_mul_f32_e32 v11, v18, v7
	;; [unrolled: 1-line block ×4, first 2 shown]
	global_store_dwordx2 v[3:4], v[10:11], off
	global_store_dwordx2 v[5:6], v[12:13], off
	s_cbranch_vccnz .LBB6_3
; %bb.2:
	s_add_i32 s28, s16, -1
	s_cbranch_execz .LBB6_4
	s_branch .LBB6_6
.LBB6_3:
                                        ; implicit-def: $sgpr28
.LBB6_4:
	s_load_dwordx2 s[4:5], s[4:5], 0x10
	s_ashr_i32 s19, s18, 31
	s_lshl_b64 s[22:23], s[18:19], 3
	v_mov_b32_e32 v10, s23
	v_add_co_u32_e32 v11, vcc, s22, v8
	s_ashr_i32 s1, s17, 31
	s_mov_b32 s0, s17
	v_addc_co_u32_e32 v12, vcc, v10, v9, vcc
	s_add_i32 s2, s2, s18
	s_lshl_b64 s[24:25], s[0:1], 3
	s_add_i32 s28, s16, -1
	v_add_u32_e32 v7, s2, v0
	v_mov_b32_e32 v0, s25
	v_add_co_u32_e32 v13, vcc, s24, v8
	v_addc_co_u32_e32 v9, vcc, v0, v9, vcc
	s_mov_b32 s26, 0
	v_mov_b32_e32 v14, s11
	v_mov_b32_e32 v15, s9
	s_waitcnt lgkmcnt(0)
	v_mov_b32_e32 v16, s5
	v_mov_b32_e32 v17, s7
	;; [unrolled: 1-line block ×4, first 2 shown]
	s_mov_b32 s5, s28
.LBB6_5:                                ; =>This Inner Loop Header: Depth=1
	v_ashrrev_i32_e32 v8, 31, v7
	v_add_co_u32_e32 v20, vcc, s10, v11
	v_addc_co_u32_e32 v21, vcc, v14, v12, vcc
	v_lshlrev_b64 v[24:25], 3, v[7:8]
	s_ashr_i32 s27, s26, 31
	v_add_co_u32_e32 v22, vcc, s8, v11
	v_addc_co_u32_e32 v23, vcc, v15, v12, vcc
	s_lshl_b64 s[2:3], s[26:27], 3
	v_add_co_u32_e64 v24, s[0:1], s4, v24
	v_mov_b32_e32 v8, s3
	v_add_co_u32_e32 v26, vcc, s2, v3
	v_addc_co_u32_e64 v25, s[0:1], v16, v25, s[0:1]
	global_load_dwordx2 v[22:23], v[22:23], off
	v_addc_co_u32_e32 v27, vcc, v4, v8, vcc
	global_load_dwordx2 v[28:29], v[24:25], off
	global_load_dwordx2 v[30:31], v[26:27], off
	global_load_dwordx2 v[32:33], v[20:21], off
	s_add_i32 s5, s5, -1
	s_add_i32 s26, s26, s17
	v_add_u32_e32 v7, s18, v7
	s_cmp_eq_u32 s5, 0
	s_waitcnt vmcnt(1)
	v_mul_f32_e32 v21, v29, v30
	v_mul_f32_e64 v20, v29, -v31
	v_fmac_f32_e32 v21, v31, v28
	v_fmac_f32_e32 v20, v30, v28
	v_sub_f32_e32 v21, v23, v21
	v_sub_f32_e32 v20, v22, v20
	v_mul_f32_e32 v30, v21, v21
	s_waitcnt vmcnt(0)
	v_mul_f32_e32 v24, v21, v33
	v_mul_f32_e64 v25, v21, -v32
	v_fmac_f32_e32 v30, v20, v20
	v_fmac_f32_e32 v24, v32, v20
	;; [unrolled: 1-line block ×3, first 2 shown]
	v_div_scale_f32 v20, s[0:1], v30, v30, 1.0
	v_div_scale_f32 v21, vcc, 1.0, v30, 1.0
	v_rcp_f32_e32 v31, v20
	v_fma_f32 v32, -v20, v31, 1.0
	v_fmac_f32_e32 v31, v32, v31
	v_mul_f32_e32 v32, v21, v31
	v_fma_f32 v33, -v20, v32, v21
	v_fmac_f32_e32 v32, v33, v31
	v_fma_f32 v20, -v20, v32, v21
	v_div_fmas_f32 v31, v20, v31, v32
	v_add_co_u32_e32 v20, vcc, s12, v13
	v_addc_co_u32_e32 v21, vcc, v18, v9, vcc
	v_div_fixup_f32 v30, v31, v30, 1.0
	v_mul_f32_e32 v24, v24, v30
	v_mul_f32_e32 v25, v25, v30
	global_store_dwordx2 v[20:21], v[24:25], off
	global_load_dwordx2 v[20:21], v[26:27], off
	v_add_co_u32_e32 v24, vcc, s6, v11
	v_addc_co_u32_e32 v25, vcc, v17, v12, vcc
	v_add_co_u32_e32 v26, vcc, s2, v5
	v_addc_co_u32_e32 v27, vcc, v6, v8, vcc
	global_load_dwordx2 v[30:31], v[26:27], off
	global_load_dwordx2 v[32:33], v[24:25], off
	v_add_co_u32_e64 v11, s[2:3], s22, v11
	v_addc_co_u32_e64 v12, s[2:3], v12, v10, s[2:3]
	s_waitcnt vmcnt(2)
	v_mul_f32_e64 v8, v29, -v21
	v_mul_f32_e32 v24, v29, v20
	v_fmac_f32_e32 v8, v20, v28
	v_fmac_f32_e32 v24, v21, v28
	v_sub_f32_e32 v8, v22, v8
	v_sub_f32_e32 v22, v23, v24
	v_mul_f32_e32 v23, v22, v22
	v_fmac_f32_e32 v23, v8, v8
	v_div_scale_f32 v20, s[0:1], v23, v23, 1.0
	v_div_scale_f32 v21, vcc, 1.0, v23, 1.0
	v_rcp_f32_e32 v24, v20
	v_fma_f32 v25, -v20, v24, 1.0
	v_fmac_f32_e32 v24, v25, v24
	v_mul_f32_e32 v25, v21, v24
	v_fma_f32 v26, -v20, v25, v21
	v_fmac_f32_e32 v25, v26, v24
	v_fma_f32 v26, -v20, v25, v21
	v_div_fmas_f32 v24, v26, v24, v25
	s_waitcnt vmcnt(1)
	v_mul_f32_e64 v25, v29, -v31
	v_mul_f32_e32 v26, v29, v30
	v_fmac_f32_e32 v25, v30, v28
	v_fmac_f32_e32 v26, v31, v28
	v_add_co_u32_e64 v20, s[0:1], s14, v13
	s_waitcnt vmcnt(0)
	v_sub_f32_e32 v25, v32, v25
	v_sub_f32_e32 v26, v33, v26
	v_addc_co_u32_e64 v21, s[0:1], v19, v9, s[0:1]
	v_mul_f32_e32 v27, v26, v22
	v_mul_f32_e64 v28, v22, -v25
	v_add_co_u32_e64 v13, s[0:1], s24, v13
	v_fmac_f32_e32 v27, v25, v8
	v_fmac_f32_e32 v28, v26, v8
	v_div_fixup_f32 v8, v24, v23, 1.0
	v_addc_co_u32_e64 v9, vcc, v9, v0, s[0:1]
	v_mul_f32_e32 v22, v27, v8
	v_mul_f32_e32 v23, v28, v8
	global_store_dwordx2 v[20:21], v[22:23], off
	s_cbranch_scc0 .LBB6_5
.LBB6_6:
	s_mul_i32 s0, s17, s28
	s_ashr_i32 s1, s0, 31
	s_lshl_b64 s[0:1], s[0:1], 3
	v_mov_b32_e32 v0, s1
	v_add_co_u32_e32 v7, vcc, s0, v5
	v_addc_co_u32_e32 v8, vcc, v6, v0, vcc
	global_load_dwordx2 v[7:8], v[7:8], off
	s_mul_i32 s2, s18, s28
	s_ashr_i32 s3, s2, 31
	s_lshl_b64 s[0:1], s[2:3], 3
	v_mov_b32_e32 v0, s1
	v_add_co_u32_e32 v9, vcc, s0, v1
	v_addc_co_u32_e32 v10, vcc, v2, v0, vcc
	s_andn2_b64 vcc, exec, s[20:21]
	s_waitcnt vmcnt(0)
	global_store_dwordx2 v[9:10], v[7:8], off
	s_cbranch_vccnz .LBB6_9
; %bb.7:
	s_add_i32 s0, s16, -2
	s_mul_i32 s3, s18, s0
	s_mul_i32 s4, s17, s0
	s_mov_b32 s6, 0
.LBB6_8:                                ; =>This Inner Loop Header: Depth=1
	s_ashr_i32 s5, s4, 31
	s_add_i32 s0, s2, s6
	s_lshl_b64 s[8:9], s[4:5], 3
	s_ashr_i32 s1, s0, 31
	v_mov_b32_e32 v0, s9
	v_add_co_u32_e32 v7, vcc, s8, v3
	s_lshl_b64 s[10:11], s[0:1], 3
	v_add_co_u32_e64 v9, s[0:1], s8, v5
	v_addc_co_u32_e32 v8, vcc, v4, v0, vcc
	v_addc_co_u32_e64 v10, s[0:1], v6, v0, s[0:1]
	v_mov_b32_e32 v0, s11
	v_add_co_u32_e32 v11, vcc, s10, v1
	v_addc_co_u32_e32 v12, vcc, v2, v0, vcc
	global_load_dwordx2 v[13:14], v[7:8], off
	global_load_dwordx2 v[15:16], v[11:12], off
	;; [unrolled: 1-line block ×3, first 2 shown]
	s_add_i32 s0, s3, s6
	s_ashr_i32 s1, s0, 31
	s_lshl_b64 s[0:1], s[0:1], 3
	v_mov_b32_e32 v0, s1
	v_add_co_u32_e32 v7, vcc, s0, v1
	v_addc_co_u32_e32 v8, vcc, v2, v0, vcc
	s_add_i32 s28, s28, -1
	s_sub_i32 s6, s6, s18
	s_sub_i32 s4, s4, s17
	s_cmp_lg_u32 s28, 0
	s_waitcnt vmcnt(1)
	v_mul_f32_e64 v0, v16, -v14
	v_mul_f32_e32 v10, v16, v13
	v_fmac_f32_e32 v0, v13, v15
	v_fmac_f32_e32 v10, v14, v15
	s_waitcnt vmcnt(0)
	v_sub_f32_e32 v9, v17, v0
	v_sub_f32_e32 v10, v18, v10
	global_store_dwordx2 v[7:8], v[9:10], off
	s_cbranch_scc1 .LBB6_8
.LBB6_9:
	s_endpgm
	.section	.rodata,"a",@progbits
	.p2align	6, 0x0
	.amdhsa_kernel _ZN9rocsparseL36gtsv_interleaved_batch_thomas_kernelILj128E21rocsparse_complex_numIfEEEviiiPKT0_S5_S5_PS3_S6_S6_
		.amdhsa_group_segment_fixed_size 0
		.amdhsa_private_segment_fixed_size 0
		.amdhsa_kernarg_size 64
		.amdhsa_user_sgpr_count 6
		.amdhsa_user_sgpr_private_segment_buffer 1
		.amdhsa_user_sgpr_dispatch_ptr 0
		.amdhsa_user_sgpr_queue_ptr 0
		.amdhsa_user_sgpr_kernarg_segment_ptr 1
		.amdhsa_user_sgpr_dispatch_id 0
		.amdhsa_user_sgpr_flat_scratch_init 0
		.amdhsa_user_sgpr_private_segment_size 0
		.amdhsa_uses_dynamic_stack 0
		.amdhsa_system_sgpr_private_segment_wavefront_offset 0
		.amdhsa_system_sgpr_workgroup_id_x 1
		.amdhsa_system_sgpr_workgroup_id_y 0
		.amdhsa_system_sgpr_workgroup_id_z 0
		.amdhsa_system_sgpr_workgroup_info 0
		.amdhsa_system_vgpr_workitem_id 0
		.amdhsa_next_free_vgpr 34
		.amdhsa_next_free_sgpr 29
		.amdhsa_reserve_vcc 1
		.amdhsa_reserve_flat_scratch 0
		.amdhsa_float_round_mode_32 0
		.amdhsa_float_round_mode_16_64 0
		.amdhsa_float_denorm_mode_32 3
		.amdhsa_float_denorm_mode_16_64 3
		.amdhsa_dx10_clamp 1
		.amdhsa_ieee_mode 1
		.amdhsa_fp16_overflow 0
		.amdhsa_exception_fp_ieee_invalid_op 0
		.amdhsa_exception_fp_denorm_src 0
		.amdhsa_exception_fp_ieee_div_zero 0
		.amdhsa_exception_fp_ieee_overflow 0
		.amdhsa_exception_fp_ieee_underflow 0
		.amdhsa_exception_fp_ieee_inexact 0
		.amdhsa_exception_int_div_zero 0
	.end_amdhsa_kernel
	.section	.text._ZN9rocsparseL36gtsv_interleaved_batch_thomas_kernelILj128E21rocsparse_complex_numIfEEEviiiPKT0_S5_S5_PS3_S6_S6_,"axG",@progbits,_ZN9rocsparseL36gtsv_interleaved_batch_thomas_kernelILj128E21rocsparse_complex_numIfEEEviiiPKT0_S5_S5_PS3_S6_S6_,comdat
.Lfunc_end6:
	.size	_ZN9rocsparseL36gtsv_interleaved_batch_thomas_kernelILj128E21rocsparse_complex_numIfEEEviiiPKT0_S5_S5_PS3_S6_S6_, .Lfunc_end6-_ZN9rocsparseL36gtsv_interleaved_batch_thomas_kernelILj128E21rocsparse_complex_numIfEEEviiiPKT0_S5_S5_PS3_S6_S6_
                                        ; -- End function
	.set _ZN9rocsparseL36gtsv_interleaved_batch_thomas_kernelILj128E21rocsparse_complex_numIfEEEviiiPKT0_S5_S5_PS3_S6_S6_.num_vgpr, 34
	.set _ZN9rocsparseL36gtsv_interleaved_batch_thomas_kernelILj128E21rocsparse_complex_numIfEEEviiiPKT0_S5_S5_PS3_S6_S6_.num_agpr, 0
	.set _ZN9rocsparseL36gtsv_interleaved_batch_thomas_kernelILj128E21rocsparse_complex_numIfEEEviiiPKT0_S5_S5_PS3_S6_S6_.numbered_sgpr, 29
	.set _ZN9rocsparseL36gtsv_interleaved_batch_thomas_kernelILj128E21rocsparse_complex_numIfEEEviiiPKT0_S5_S5_PS3_S6_S6_.num_named_barrier, 0
	.set _ZN9rocsparseL36gtsv_interleaved_batch_thomas_kernelILj128E21rocsparse_complex_numIfEEEviiiPKT0_S5_S5_PS3_S6_S6_.private_seg_size, 0
	.set _ZN9rocsparseL36gtsv_interleaved_batch_thomas_kernelILj128E21rocsparse_complex_numIfEEEviiiPKT0_S5_S5_PS3_S6_S6_.uses_vcc, 1
	.set _ZN9rocsparseL36gtsv_interleaved_batch_thomas_kernelILj128E21rocsparse_complex_numIfEEEviiiPKT0_S5_S5_PS3_S6_S6_.uses_flat_scratch, 0
	.set _ZN9rocsparseL36gtsv_interleaved_batch_thomas_kernelILj128E21rocsparse_complex_numIfEEEviiiPKT0_S5_S5_PS3_S6_S6_.has_dyn_sized_stack, 0
	.set _ZN9rocsparseL36gtsv_interleaved_batch_thomas_kernelILj128E21rocsparse_complex_numIfEEEviiiPKT0_S5_S5_PS3_S6_S6_.has_recursion, 0
	.set _ZN9rocsparseL36gtsv_interleaved_batch_thomas_kernelILj128E21rocsparse_complex_numIfEEEviiiPKT0_S5_S5_PS3_S6_S6_.has_indirect_call, 0
	.section	.AMDGPU.csdata,"",@progbits
; Kernel info:
; codeLenInByte = 1256
; TotalNumSgprs: 33
; NumVgprs: 34
; ScratchSize: 0
; MemoryBound: 0
; FloatMode: 240
; IeeeMode: 1
; LDSByteSize: 0 bytes/workgroup (compile time only)
; SGPRBlocks: 4
; VGPRBlocks: 8
; NumSGPRsForWavesPerEU: 33
; NumVGPRsForWavesPerEU: 34
; Occupancy: 7
; WaveLimiterHint : 0
; COMPUTE_PGM_RSRC2:SCRATCH_EN: 0
; COMPUTE_PGM_RSRC2:USER_SGPR: 6
; COMPUTE_PGM_RSRC2:TRAP_HANDLER: 0
; COMPUTE_PGM_RSRC2:TGID_X_EN: 1
; COMPUTE_PGM_RSRC2:TGID_Y_EN: 0
; COMPUTE_PGM_RSRC2:TGID_Z_EN: 0
; COMPUTE_PGM_RSRC2:TIDIG_COMP_CNT: 0
	.section	.text._ZN9rocsparseL32gtsv_interleaved_batch_lu_kernelILj128E21rocsparse_complex_numIfEEEviiiPT0_S4_S4_S4_PiS4_,"axG",@progbits,_ZN9rocsparseL32gtsv_interleaved_batch_lu_kernelILj128E21rocsparse_complex_numIfEEEviiiPT0_S4_S4_S4_PiS4_,comdat
	.globl	_ZN9rocsparseL32gtsv_interleaved_batch_lu_kernelILj128E21rocsparse_complex_numIfEEEviiiPT0_S4_S4_S4_PiS4_ ; -- Begin function _ZN9rocsparseL32gtsv_interleaved_batch_lu_kernelILj128E21rocsparse_complex_numIfEEEviiiPT0_S4_S4_S4_PiS4_
	.p2align	8
	.type	_ZN9rocsparseL32gtsv_interleaved_batch_lu_kernelILj128E21rocsparse_complex_numIfEEEviiiPT0_S4_S4_S4_PiS4_,@function
_ZN9rocsparseL32gtsv_interleaved_batch_lu_kernelILj128E21rocsparse_complex_numIfEEEviiiPT0_S4_S4_S4_PiS4_: ; @_ZN9rocsparseL32gtsv_interleaved_batch_lu_kernelILj128E21rocsparse_complex_numIfEEEviiiPT0_S4_S4_S4_PiS4_
; %bb.0:
	s_load_dwordx4 s[16:19], s[4:5], 0x0
	s_waitcnt lgkmcnt(0)
	s_lshl_b32 s19, s6, 7
	v_or_b32_e32 v1, s19, v0
	v_cmp_gt_i32_e32 vcc, s17, v1
	s_and_saveexec_b64 s[0:1], vcc
	s_cbranch_execz .LBB7_31
; %bb.1:
	s_load_dwordx8 s[8:15], s[4:5], 0x18
	s_load_dwordx2 s[2:3], s[4:5], 0x38
	v_ashrrev_i32_e32 v2, 31, v1
	v_lshlrev_b64 v[2:3], 2, v[1:2]
	s_add_i32 s22, s16, -1
	s_waitcnt lgkmcnt(0)
	v_mov_b32_e32 v4, s15
	v_add_co_u32_e32 v2, vcc, s14, v2
	v_addc_co_u32_e32 v3, vcc, v4, v3, vcc
	v_mov_b32_e32 v4, 0
	s_cmp_lt_i32 s16, 2
	global_store_dword v[2:3], v4, off
	s_cbranch_scc1 .LBB7_28
; %bb.2:
	s_load_dwordx2 s[4:5], s[4:5], 0x10
	s_mov_b32 s25, 0
	v_mov_b32_e32 v18, s9
	s_mov_b32 s23, 0xf800000
	v_mov_b32_e32 v20, 0x260
	s_waitcnt lgkmcnt(0)
	v_mov_b32_e32 v19, s5
	s_branch .LBB7_4
.LBB7_3:                                ;   in Loop: Header=BB7_4 Depth=1
	s_or_b64 exec, exec, s[0:1]
	v_mov_b32_e32 v6, s11
	v_add_co_u32_e32 v4, vcc, s10, v4
	v_addc_co_u32_e32 v5, vcc, v6, v5, vcc
	s_cmp_lg_u32 s24, s22
	s_mov_b32 s25, s24
	global_store_dword v[4:5], v17, off offset:4
	s_cbranch_scc0 .LBB7_20
.LBB7_4:                                ; =>This Inner Loop Header: Depth=1
	s_mul_i32 s0, s25, s18
	v_add_u32_e32 v6, s0, v1
	v_ashrrev_i32_e32 v7, 31, v6
	v_lshlrev_b64 v[12:13], 3, v[6:7]
	v_add_u32_e32 v4, s18, v6
	v_add_co_u32_e32 v14, vcc, s8, v12
	v_ashrrev_i32_e32 v5, 31, v4
	v_addc_co_u32_e32 v15, vcc, v18, v13, vcc
	v_lshlrev_b64 v[4:5], 3, v[4:5]
	global_load_dwordx2 v[10:11], v[14:15], off
	v_add_co_u32_e32 v6, vcc, s4, v4
	v_addc_co_u32_e32 v7, vcc, v19, v5, vcc
	global_load_dwordx2 v[8:9], v[6:7], off
                                        ; implicit-def: $vgpr16
	s_waitcnt vmcnt(1)
	v_cmp_gt_f32_e32 vcc, 0, v10
	v_cndmask_b32_e64 v17, v10, -v10, vcc
	v_cmp_gt_f32_e32 vcc, 0, v11
	v_cndmask_b32_e64 v21, v11, -v11, vcc
	v_cmp_ngt_f32_e32 vcc, v17, v21
	s_and_saveexec_b64 s[0:1], vcc
	s_xor_b64 s[6:7], exec, s[0:1]
	s_cbranch_execz .LBB7_8
; %bb.5:                                ;   in Loop: Header=BB7_4 Depth=1
	v_mov_b32_e32 v16, 0
	v_cmp_neq_f32_e32 vcc, 0, v11
	s_and_saveexec_b64 s[20:21], vcc
	s_cbranch_execz .LBB7_7
; %bb.6:                                ;   in Loop: Header=BB7_4 Depth=1
	v_div_scale_f32 v16, s[0:1], v21, v21, v17
	v_div_scale_f32 v22, vcc, v17, v21, v17
	v_rcp_f32_e32 v23, v16
	v_fma_f32 v24, -v16, v23, 1.0
	v_fmac_f32_e32 v23, v24, v23
	v_mul_f32_e32 v24, v22, v23
	v_fma_f32 v25, -v16, v24, v22
	v_fmac_f32_e32 v24, v25, v23
	v_fma_f32 v16, -v16, v24, v22
	v_div_fmas_f32 v16, v16, v23, v24
	v_div_fixup_f32 v16, v16, v21, v17
	v_fma_f32 v16, v16, v16, 1.0
	v_mul_f32_e32 v17, 0x4f800000, v16
	v_cmp_gt_f32_e32 vcc, s23, v16
	v_cndmask_b32_e32 v16, v16, v17, vcc
	v_sqrt_f32_e32 v17, v16
	v_add_u32_e32 v22, -1, v17
	v_add_u32_e32 v23, 1, v17
	v_fma_f32 v24, -v22, v17, v16
	v_fma_f32 v25, -v23, v17, v16
	v_cmp_ge_f32_e64 s[0:1], 0, v24
	v_cndmask_b32_e64 v17, v17, v22, s[0:1]
	v_cmp_lt_f32_e64 s[0:1], 0, v25
	v_cndmask_b32_e64 v17, v17, v23, s[0:1]
	v_mul_f32_e32 v22, 0x37800000, v17
	v_cndmask_b32_e32 v17, v17, v22, vcc
	v_cmp_class_f32_e32 vcc, v16, v20
	v_cndmask_b32_e32 v16, v17, v16, vcc
	v_mul_f32_e32 v16, v21, v16
.LBB7_7:                                ;   in Loop: Header=BB7_4 Depth=1
	s_or_b64 exec, exec, s[20:21]
                                        ; implicit-def: $vgpr17
                                        ; implicit-def: $vgpr21
.LBB7_8:                                ;   in Loop: Header=BB7_4 Depth=1
	s_andn2_saveexec_b64 s[6:7], s[6:7]
	s_cbranch_execz .LBB7_10
; %bb.9:                                ;   in Loop: Header=BB7_4 Depth=1
	v_div_scale_f32 v16, s[0:1], v17, v17, v21
	v_div_scale_f32 v22, vcc, v21, v17, v21
	v_rcp_f32_e32 v23, v16
	v_fma_f32 v24, -v16, v23, 1.0
	v_fmac_f32_e32 v23, v24, v23
	v_mul_f32_e32 v24, v22, v23
	v_fma_f32 v25, -v16, v24, v22
	v_fmac_f32_e32 v24, v25, v23
	v_fma_f32 v16, -v16, v24, v22
	v_div_fmas_f32 v16, v16, v23, v24
	v_div_fixup_f32 v16, v16, v17, v21
	v_fma_f32 v16, v16, v16, 1.0
	v_mul_f32_e32 v21, 0x4f800000, v16
	v_cmp_gt_f32_e32 vcc, s23, v16
	v_cndmask_b32_e32 v16, v16, v21, vcc
	v_sqrt_f32_e32 v21, v16
	v_add_u32_e32 v22, -1, v21
	v_add_u32_e32 v23, 1, v21
	v_fma_f32 v24, -v22, v21, v16
	v_fma_f32 v25, -v23, v21, v16
	v_cmp_ge_f32_e64 s[0:1], 0, v24
	v_cndmask_b32_e64 v21, v21, v22, s[0:1]
	v_cmp_lt_f32_e64 s[0:1], 0, v25
	v_cndmask_b32_e64 v21, v21, v23, s[0:1]
	v_mul_f32_e32 v22, 0x37800000, v21
	v_cndmask_b32_e32 v21, v21, v22, vcc
	v_cmp_class_f32_e32 vcc, v16, v20
	v_cndmask_b32_e32 v16, v21, v16, vcc
	v_mul_f32_e32 v16, v17, v16
.LBB7_10:                               ;   in Loop: Header=BB7_4 Depth=1
	s_or_b64 exec, exec, s[6:7]
	s_waitcnt vmcnt(0)
	v_cmp_gt_f32_e32 vcc, 0, v8
	v_cndmask_b32_e64 v17, v8, -v8, vcc
	v_cmp_gt_f32_e32 vcc, 0, v9
	v_cndmask_b32_e64 v21, v9, -v9, vcc
	v_cmp_ngt_f32_e32 vcc, v17, v21
                                        ; implicit-def: $vgpr22
	s_and_saveexec_b64 s[0:1], vcc
	s_xor_b64 s[6:7], exec, s[0:1]
	s_cbranch_execz .LBB7_14
; %bb.11:                               ;   in Loop: Header=BB7_4 Depth=1
	v_mov_b32_e32 v22, 0
	v_cmp_neq_f32_e32 vcc, 0, v9
	s_and_saveexec_b64 s[20:21], vcc
	s_cbranch_execz .LBB7_13
; %bb.12:                               ;   in Loop: Header=BB7_4 Depth=1
	v_div_scale_f32 v22, s[0:1], v21, v21, v17
	v_div_scale_f32 v23, vcc, v17, v21, v17
	v_rcp_f32_e32 v24, v22
	v_fma_f32 v25, -v22, v24, 1.0
	v_fmac_f32_e32 v24, v25, v24
	v_mul_f32_e32 v25, v23, v24
	v_fma_f32 v26, -v22, v25, v23
	v_fmac_f32_e32 v25, v26, v24
	v_fma_f32 v22, -v22, v25, v23
	v_div_fmas_f32 v22, v22, v24, v25
	v_div_fixup_f32 v17, v22, v21, v17
	v_fma_f32 v17, v17, v17, 1.0
	v_mul_f32_e32 v22, 0x4f800000, v17
	v_cmp_gt_f32_e32 vcc, s23, v17
	v_cndmask_b32_e32 v17, v17, v22, vcc
	v_sqrt_f32_e32 v22, v17
	v_add_u32_e32 v23, -1, v22
	v_add_u32_e32 v24, 1, v22
	v_fma_f32 v25, -v23, v22, v17
	v_fma_f32 v26, -v24, v22, v17
	v_cmp_ge_f32_e64 s[0:1], 0, v25
	v_cndmask_b32_e64 v22, v22, v23, s[0:1]
	v_cmp_lt_f32_e64 s[0:1], 0, v26
	v_cndmask_b32_e64 v22, v22, v24, s[0:1]
	v_mul_f32_e32 v23, 0x37800000, v22
	v_cndmask_b32_e32 v22, v22, v23, vcc
	v_cmp_class_f32_e32 vcc, v17, v20
	v_cndmask_b32_e32 v17, v22, v17, vcc
	v_mul_f32_e32 v22, v21, v17
.LBB7_13:                               ;   in Loop: Header=BB7_4 Depth=1
	s_or_b64 exec, exec, s[20:21]
                                        ; implicit-def: $vgpr17
                                        ; implicit-def: $vgpr21
.LBB7_14:                               ;   in Loop: Header=BB7_4 Depth=1
	s_andn2_saveexec_b64 s[6:7], s[6:7]
	s_cbranch_execz .LBB7_16
; %bb.15:                               ;   in Loop: Header=BB7_4 Depth=1
	v_div_scale_f32 v22, s[0:1], v17, v17, v21
	v_div_scale_f32 v23, vcc, v21, v17, v21
	v_rcp_f32_e32 v24, v22
	v_fma_f32 v25, -v22, v24, 1.0
	v_fmac_f32_e32 v24, v25, v24
	v_mul_f32_e32 v25, v23, v24
	v_fma_f32 v26, -v22, v25, v23
	v_fmac_f32_e32 v25, v26, v24
	v_fma_f32 v22, -v22, v25, v23
	v_div_fmas_f32 v22, v22, v24, v25
	v_div_fixup_f32 v21, v22, v17, v21
	v_fma_f32 v21, v21, v21, 1.0
	v_mul_f32_e32 v22, 0x4f800000, v21
	v_cmp_gt_f32_e32 vcc, s23, v21
	v_cndmask_b32_e32 v21, v21, v22, vcc
	v_sqrt_f32_e32 v22, v21
	v_add_u32_e32 v23, -1, v22
	v_add_u32_e32 v24, 1, v22
	v_fma_f32 v25, -v23, v22, v21
	v_fma_f32 v26, -v24, v22, v21
	v_cmp_ge_f32_e64 s[0:1], 0, v25
	v_cndmask_b32_e64 v22, v22, v23, s[0:1]
	v_cmp_lt_f32_e64 s[0:1], 0, v26
	v_cndmask_b32_e64 v22, v22, v24, s[0:1]
	v_mul_f32_e32 v23, 0x37800000, v22
	v_cndmask_b32_e32 v22, v22, v23, vcc
	v_cmp_class_f32_e32 vcc, v21, v20
	v_cndmask_b32_e32 v21, v22, v21, vcc
	v_mul_f32_e32 v22, v17, v21
.LBB7_16:                               ;   in Loop: Header=BB7_4 Depth=1
	s_or_b64 exec, exec, s[6:7]
	s_mul_i32 s6, s25, s17
	s_add_i32 s24, s25, 1
	v_cmp_nlt_f32_e32 vcc, v16, v22
	v_mul_f32_e32 v21, v11, v9
	v_add_u32_e32 v16, s6, v1
                                        ; implicit-def: $vgpr17
	s_and_saveexec_b64 s[0:1], vcc
	s_xor_b64 s[20:21], exec, s[0:1]
	s_cbranch_execz .LBB7_18
; %bb.17:                               ;   in Loop: Header=BB7_4 Depth=1
	v_mul_f32_e32 v24, v11, v11
	v_fmac_f32_e32 v24, v10, v10
	v_div_scale_f32 v22, s[0:1], v24, v24, 1.0
	v_div_scale_f32 v23, s[0:1], 1.0, v24, 1.0
	v_mov_b32_e32 v14, s11
	v_add_co_u32_e32 v12, vcc, s10, v12
	v_addc_co_u32_e32 v13, vcc, v14, v13, vcc
	v_ashrrev_i32_e32 v17, 31, v16
	v_mul_f32_e64 v25, v11, -v8
	v_mov_b32_e32 v15, s9
	v_add_co_u32_e32 v14, vcc, s8, v4
	v_lshlrev_b64 v[16:17], 3, v[16:17]
	v_fmac_f32_e32 v21, v8, v10
	v_rcp_f32_e32 v26, v22
	v_fmac_f32_e32 v25, v9, v10
	v_addc_co_u32_e32 v15, vcc, v15, v5, vcc
	v_fma_f32 v10, -v22, v26, 1.0
	v_fmac_f32_e32 v26, v10, v26
	v_add_co_u32_e32 v8, vcc, s12, v16
	v_mul_f32_e32 v16, v23, v26
	v_mov_b32_e32 v9, s13
	v_fma_f32 v10, -v22, v16, v23
	v_addc_co_u32_e32 v9, vcc, v9, v17, vcc
	v_fmac_f32_e32 v16, v10, v26
	v_fma_f32 v17, -v22, v16, v23
	s_mov_b64 vcc, s[0:1]
	s_nop 0
	v_div_fmas_f32 v26, v17, v26, v16
	s_mul_i32 s0, s24, s17
	s_ashr_i32 s1, s0, 31
	s_lshl_b64 s[0:1], s[0:1], 2
	global_load_dwordx2 v[12:13], v[12:13], off
	v_mov_b32_e32 v17, s1
	v_add_co_u32_e32 v16, vcc, s0, v2
	v_addc_co_u32_e32 v17, vcc, v3, v17, vcc
	v_mov_b32_e32 v22, s24
	global_load_dwordx2 v[10:11], v[14:15], off
	s_nop 0
	global_store_dword v[16:17], v22, off
	v_mov_b32_e32 v16, s11
	global_load_dwordx2 v[8:9], v[8:9], off
	v_add_co_u32_e32 v22, vcc, s10, v4
	v_addc_co_u32_e32 v23, vcc, v16, v5, vcc
	v_div_fixup_f32 v17, v26, v24, 1.0
	v_mul_f32_e32 v16, v21, v17
	v_mul_f32_e32 v17, v25, v17
	global_load_dwordx2 v[24:25], v[22:23], off
                                        ; implicit-def: $vgpr21
	s_nop 0
	global_store_dwordx2 v[6:7], v[16:17], off
	s_waitcnt vmcnt(5)
	v_mul_f32_e64 v6, v13, -v17
	v_mul_f32_e32 v7, v16, v13
	v_fmac_f32_e32 v6, v16, v12
	v_fmac_f32_e32 v7, v17, v12
                                        ; implicit-def: $vgpr12_vgpr13
	s_waitcnt vmcnt(4)
	v_sub_f32_e32 v6, v10, v6
	v_sub_f32_e32 v7, v11, v7
	global_store_dwordx2 v[14:15], v[6:7], off
                                        ; implicit-def: $vgpr14_vgpr15
	s_waitcnt vmcnt(3)
	v_mul_f32_e64 v10, v9, -v17
	v_mul_f32_e32 v9, v16, v9
	v_fmac_f32_e32 v10, v16, v8
	v_fmac_f32_e32 v9, v17, v8
                                        ; implicit-def: $vgpr16
	s_waitcnt vmcnt(2)
	v_sub_f32_e32 v6, v24, v10
	v_sub_f32_e32 v17, v25, v9
	global_store_dword v[22:23], v6, off
                                        ; implicit-def: $vgpr8_vgpr9
                                        ; implicit-def: $vgpr10_vgpr11
                                        ; implicit-def: $vgpr6_vgpr7
.LBB7_18:                               ;   in Loop: Header=BB7_4 Depth=1
	s_andn2_saveexec_b64 s[0:1], s[20:21]
	s_cbranch_execz .LBB7_3
; %bb.19:                               ;   in Loop: Header=BB7_4 Depth=1
	v_mov_b32_e32 v17, s3
	v_add_co_u32_e32 v22, vcc, s2, v4
	v_addc_co_u32_e32 v23, vcc, v17, v5, vcc
	v_add_co_u32_e32 v24, vcc, s2, v12
	v_addc_co_u32_e32 v25, vcc, v17, v13, vcc
	global_load_dwordx2 v[26:27], v[22:23], off
	global_load_dwordx2 v[28:29], v[24:25], off
	v_ashrrev_i32_e32 v17, 31, v16
	v_add_co_u32_e32 v12, vcc, s10, v12
	s_ashr_i32 s7, s6, 31
	s_lshl_b64 s[6:7], s[6:7], 2
	v_fmac_f32_e32 v21, v10, v8
	s_waitcnt vmcnt(1)
	global_store_dwordx2 v[24:25], v[26:27], off
	s_waitcnt vmcnt(1)
	global_store_dwordx2 v[22:23], v[28:29], off
	v_mov_b32_e32 v22, s11
	v_addc_co_u32_e32 v13, vcc, v22, v13, vcc
	v_lshlrev_b64 v[22:23], 3, v[16:17]
	v_mov_b32_e32 v24, s13
	v_add_co_u32_e32 v22, vcc, s12, v22
	v_addc_co_u32_e32 v23, vcc, v24, v23, vcc
	v_mov_b32_e32 v17, s7
	v_add_co_u32_e32 v24, vcc, s6, v2
	v_addc_co_u32_e32 v25, vcc, v3, v17, vcc
	v_mov_b32_e32 v17, s24
	v_add_u32_e32 v16, s17, v16
	global_load_dword v28, v[24:25], off
	v_mul_f32_e64 v26, v9, -v10
	global_store_dword v[24:25], v17, off
	v_ashrrev_i32_e32 v17, 31, v16
	v_lshlrev_b64 v[16:17], 2, v[16:17]
	v_mov_b32_e32 v24, s15
	v_add_co_u32_e32 v16, vcc, s14, v16
	v_addc_co_u32_e32 v17, vcc, v24, v17, vcc
	v_fmac_f32_e32 v26, v11, v8
	v_mov_b32_e32 v11, s9
	v_add_co_u32_e32 v10, vcc, s8, v4
	v_addc_co_u32_e32 v11, vcc, v11, v5, vcc
	global_load_dwordx2 v[24:25], v[10:11], off
	s_nop 0
	global_store_dwordx2 v[14:15], v[8:9], off
	v_mul_f32_e32 v9, v9, v9
	v_fmac_f32_e32 v9, v8, v8
	v_div_scale_f32 v8, s[6:7], v9, v9, 1.0
	v_rcp_f32_e32 v14, v8
	v_fma_f32 v15, -v8, v14, 1.0
	v_fmac_f32_e32 v14, v15, v14
	v_div_scale_f32 v15, vcc, 1.0, v9, 1.0
	v_mul_f32_e32 v27, v15, v14
	v_fma_f32 v29, -v8, v27, v15
	v_fmac_f32_e32 v27, v29, v14
	v_fma_f32 v8, -v8, v27, v15
	v_div_fmas_f32 v8, v8, v14, v27
	v_mov_b32_e32 v15, s11
	v_add_co_u32_e32 v14, vcc, s10, v4
	v_addc_co_u32_e32 v15, vcc, v15, v5, vcc
	v_div_fixup_f32 v9, v8, v9, 1.0
	v_mul_f32_e32 v8, v9, v21
	v_mul_f32_e32 v9, v26, v9
	global_store_dwordx2 v[6:7], v[8:9], off
	global_load_dwordx2 v[6:7], v[14:15], off
	s_nop 0
	global_load_dwordx2 v[26:27], v[12:13], off
	s_waitcnt vmcnt(1)
	v_mul_f32_e64 v21, v7, -v9
	global_store_dwordx2 v[12:13], v[24:25], off
	global_load_dwordx2 v[24:25], v[22:23], off
	v_fmac_f32_e32 v21, v8, v6
	global_store_dwordx2 v[22:23], v[6:7], off
	v_mul_f32_e32 v22, v8, v7
	v_fmac_f32_e32 v22, v9, v6
	global_store_dword v[16:17], v28, off
	s_waitcnt vmcnt(2)
	global_store_dwordx2 v[14:15], v[24:25], off
	global_load_dwordx2 v[6:7], v[12:13], off
	v_sub_f32_e32 v17, v25, v22
	v_sub_f32_e32 v12, v24, v21
	s_waitcnt vmcnt(0)
	v_mul_f32_e64 v13, v7, -v9
	v_mul_f32_e32 v7, v8, v7
	v_fmac_f32_e32 v13, v8, v6
	v_fmac_f32_e32 v7, v9, v6
	v_sub_f32_e32 v6, v26, v13
	v_sub_f32_e32 v7, v27, v7
	global_store_dwordx2 v[10:11], v[6:7], off
	global_store_dword v[14:15], v12, off
	s_branch .LBB7_3
.LBB7_20:
	s_mov_b32 s20, 1
	v_mov_b32_e32 v4, 0
	s_branch .LBB7_23
.LBB7_21:                               ;   in Loop: Header=BB7_23 Depth=1
	s_or_b64 exec, exec, s[6:7]
	s_mul_i32 s6, s20, s18
	v_add_u32_e32 v7, s6, v1
	v_ashrrev_i32_e32 v8, 31, v7
	v_lshlrev_b64 v[7:8], 3, v[7:8]
	v_mov_b32_e32 v4, s3
	v_add_co_u32_e32 v7, vcc, s2, v7
	v_addc_co_u32_e32 v8, vcc, v4, v8, vcc
	global_load_dwordx2 v[9:10], v[7:8], off
	s_waitcnt vmcnt(0)
	v_add_f32_e32 v4, v6, v9
	v_add_f32_e32 v5, v5, v10
	global_store_dwordx2 v[7:8], v[4:5], off
	v_mov_b32_e32 v4, s20
.LBB7_22:                               ;   in Loop: Header=BB7_23 Depth=1
	s_or_b64 exec, exec, s[0:1]
	s_add_i32 s20, s20, 1
	s_cmp_eq_u32 s20, s16
	s_cbranch_scc1 .LBB7_28
.LBB7_23:                               ; =>This Loop Header: Depth=1
                                        ;     Child Loop BB7_26 Depth 2
	s_mul_i32 s0, s20, s17
	s_ashr_i32 s1, s0, 31
	s_lshl_b64 s[0:1], s[0:1], 2
	v_mov_b32_e32 v6, s1
	v_add_co_u32_e32 v5, vcc, s0, v2
	v_addc_co_u32_e32 v6, vcc, v3, v6, vcc
	global_load_dword v5, v[5:6], off
	s_waitcnt vmcnt(0)
	v_cmp_ge_i32_e32 vcc, s20, v5
	s_and_saveexec_b64 s[0:1], vcc
	s_cbranch_execz .LBB7_22
; %bb.24:                               ;   in Loop: Header=BB7_23 Depth=1
	v_cmp_gt_u32_e32 vcc, s20, v4
	v_mov_b32_e32 v5, 0
	v_mov_b32_e32 v6, 0
	s_and_saveexec_b64 s[6:7], vcc
	s_cbranch_execz .LBB7_21
; %bb.25:                               ;   in Loop: Header=BB7_23 Depth=1
	v_mul_lo_u32 v7, s18, v4
	v_mov_b32_e32 v5, 0
	s_mov_b64 s[14:15], 0
	v_mov_b32_e32 v8, v1
	v_add_u32_e32 v9, s18, v7
	v_mov_b32_e32 v6, 0
.LBB7_26:                               ;   Parent Loop BB7_23 Depth=1
                                        ; =>  This Inner Loop Header: Depth=2
	v_add_u32_e32 v10, v9, v8
	v_ashrrev_i32_e32 v11, 31, v10
	v_add_u32_e32 v12, v7, v8
	v_lshlrev_b64 v[10:11], 3, v[10:11]
	v_ashrrev_i32_e32 v13, 31, v12
	v_mov_b32_e32 v14, s5
	v_lshlrev_b64 v[12:13], 3, v[12:13]
	v_add_co_u32_e32 v10, vcc, s4, v10
	v_addc_co_u32_e32 v11, vcc, v14, v11, vcc
	v_mov_b32_e32 v15, s3
	v_add_co_u32_e32 v12, vcc, s2, v12
	v_addc_co_u32_e32 v13, vcc, v15, v13, vcc
	global_load_dwordx2 v[14:15], v[10:11], off
	global_load_dwordx2 v[16:17], v[12:13], off
	v_add_u32_e32 v4, 1, v4
	v_cmp_le_u32_e32 vcc, s20, v4
	v_add_u32_e32 v8, s18, v8
	s_or_b64 s[14:15], vcc, s[14:15]
	s_waitcnt vmcnt(0)
	v_mul_f32_e64 v10, v17, -v15
	v_mul_f32_e32 v11, v17, v14
	v_fmac_f32_e32 v10, v14, v16
	v_fmac_f32_e32 v11, v15, v16
	v_sub_f32_e32 v6, v6, v10
	v_sub_f32_e32 v5, v5, v11
	s_andn2_b64 exec, exec, s[14:15]
	s_cbranch_execnz .LBB7_26
; %bb.27:                               ;   in Loop: Header=BB7_23 Depth=1
	s_or_b64 exec, exec, s[14:15]
	s_branch .LBB7_21
.LBB7_28:
	s_mul_i32 s0, s18, s22
	v_add_u32_e32 v2, s0, v1
	v_ashrrev_i32_e32 v3, 31, v2
	v_lshlrev_b64 v[2:3], 3, v[2:3]
	v_mov_b32_e32 v5, s9
	v_add_co_u32_e32 v4, vcc, s8, v2
	v_addc_co_u32_e32 v5, vcc, v5, v3, vcc
	global_load_dwordx2 v[4:5], v[4:5], off
	v_mov_b32_e32 v6, s3
	v_add_co_u32_e32 v2, vcc, s2, v2
	v_addc_co_u32_e32 v3, vcc, v6, v3, vcc
	global_load_dwordx2 v[6:7], v[2:3], off
	s_sub_i32 s1, s0, s18
	v_add_u32_e32 v8, s1, v1
	v_ashrrev_i32_e32 v9, 31, v8
	v_lshlrev_b64 v[8:9], 3, v[8:9]
	v_mov_b32_e32 v11, s9
	v_add_co_u32_e32 v10, vcc, s8, v8
	v_addc_co_u32_e32 v11, vcc, v11, v9, vcc
	global_load_dwordx2 v[10:11], v[10:11], off
	s_cmp_lt_i32 s16, 3
	s_waitcnt vmcnt(2)
	v_mul_f32_e32 v14, v5, v5
	v_fmac_f32_e32 v14, v4, v4
	v_div_scale_f32 v12, s[4:5], v14, v14, 1.0
	v_div_scale_f32 v13, vcc, 1.0, v14, 1.0
	v_rcp_f32_e32 v15, v12
	v_fma_f32 v16, -v12, v15, 1.0
	v_fmac_f32_e32 v15, v16, v15
	v_mul_f32_e32 v16, v13, v15
	v_fma_f32 v17, -v12, v16, v13
	v_fmac_f32_e32 v16, v17, v15
	v_fma_f32 v12, -v12, v16, v13
	v_div_fmas_f32 v15, v12, v15, v16
	v_mov_b32_e32 v13, s3
	v_add_co_u32_e32 v12, vcc, s2, v8
	v_addc_co_u32_e32 v13, vcc, v13, v9, vcc
	v_mov_b32_e32 v16, s11
	v_add_co_u32_e32 v8, vcc, s10, v8
	v_addc_co_u32_e32 v9, vcc, v16, v9, vcc
	s_waitcnt vmcnt(1)
	v_mul_f32_e32 v16, v5, v7
	v_mul_f32_e64 v5, v5, -v6
	v_fmac_f32_e32 v16, v6, v4
	v_fmac_f32_e32 v5, v7, v4
	global_load_dwordx2 v[8:9], v[8:9], off
	v_div_fixup_f32 v6, v15, v14, 1.0
	v_mul_f32_e32 v4, v6, v16
	v_mul_f32_e32 v5, v5, v6
	global_store_dwordx2 v[2:3], v[4:5], off
	global_load_dwordx2 v[2:3], v[12:13], off
	s_waitcnt vmcnt(3)
	v_mul_f32_e32 v6, v11, v11
	v_fmac_f32_e32 v6, v10, v10
	v_div_scale_f32 v7, s[4:5], v6, v6, 1.0
	v_div_scale_f32 v14, vcc, 1.0, v6, 1.0
	v_rcp_f32_e32 v15, v7
	v_fma_f32 v16, -v7, v15, 1.0
	v_fmac_f32_e32 v15, v16, v15
	v_mul_f32_e32 v16, v14, v15
	v_fma_f32 v17, -v7, v16, v14
	v_fmac_f32_e32 v16, v17, v15
	v_fma_f32 v7, -v7, v16, v14
	v_div_fmas_f32 v7, v7, v15, v16
	v_div_fixup_f32 v6, v7, v6, 1.0
	s_waitcnt vmcnt(2)
	v_mul_f32_e64 v7, v5, -v9
	v_mul_f32_e32 v5, v5, v8
	v_fmac_f32_e32 v7, v8, v4
	v_fmac_f32_e32 v5, v9, v4
	s_waitcnt vmcnt(0)
	v_sub_f32_e32 v2, v2, v7
	v_sub_f32_e32 v3, v3, v5
	v_mul_f32_e32 v4, v11, v3
	v_mul_f32_e64 v5, v11, -v2
	v_fmac_f32_e32 v4, v2, v10
	v_fmac_f32_e32 v5, v3, v10
	v_mul_f32_e32 v2, v6, v4
	v_mul_f32_e32 v3, v5, v6
	global_store_dwordx2 v[12:13], v[2:3], off
	s_cbranch_scc1 .LBB7_31
; %bb.29:
	s_add_i32 s5, s16, -3
	s_mul_i32 s4, s17, s5
	s_add_i32 s1, s16, -2
	s_add_i32 s19, s19, s4
	v_add_u32_e32 v2, s19, v0
	s_mul_i32 s4, s18, s1
	s_mul_i32 s5, s18, s5
.LBB7_30:                               ; =>This Inner Loop Header: Depth=1
	v_ashrrev_i32_e32 v3, 31, v2
	v_add_u32_e32 v4, s5, v1
	v_add_u32_e32 v6, s4, v1
	;; [unrolled: 1-line block ×3, first 2 shown]
	v_lshlrev_b64 v[10:11], 3, v[2:3]
	v_ashrrev_i32_e32 v5, 31, v4
	v_ashrrev_i32_e32 v7, 31, v6
	;; [unrolled: 1-line block ×3, first 2 shown]
	v_mov_b32_e32 v12, s13
	v_lshlrev_b64 v[3:4], 3, v[4:5]
	v_lshlrev_b64 v[5:6], 3, v[6:7]
	;; [unrolled: 1-line block ×3, first 2 shown]
	v_add_co_u32_e32 v9, vcc, s12, v10
	v_addc_co_u32_e32 v10, vcc, v12, v11, vcc
	v_mov_b32_e32 v0, s3
	v_add_co_u32_e32 v11, vcc, s2, v3
	v_addc_co_u32_e32 v12, vcc, v0, v4, vcc
	v_mov_b32_e32 v14, s9
	v_add_co_u32_e32 v13, vcc, s8, v3
	v_addc_co_u32_e32 v14, vcc, v14, v4, vcc
	global_load_dwordx2 v[13:14], v[13:14], off
	v_mov_b32_e32 v15, s11
	v_add_co_u32_e32 v3, vcc, s10, v3
	v_addc_co_u32_e32 v4, vcc, v15, v4, vcc
	v_add_co_u32_e32 v5, vcc, s2, v5
	v_addc_co_u32_e32 v6, vcc, v0, v6, vcc
	;; [unrolled: 2-line block ×3, first 2 shown]
	global_load_dwordx2 v[15:16], v[9:10], off
	global_load_dwordx2 v[17:18], v[3:4], off
	;; [unrolled: 1-line block ×5, first 2 shown]
	s_add_i32 s1, s1, -1
	v_subrev_u32_e32 v1, s18, v1
	v_subrev_u32_e32 v2, s17, v2
	s_cmp_lg_u32 s1, 0
	s_waitcnt vmcnt(5)
	v_mul_f32_e32 v0, v14, v14
	v_fmac_f32_e32 v0, v13, v13
	v_div_scale_f32 v3, s[6:7], v0, v0, 1.0
	v_div_scale_f32 v4, vcc, 1.0, v0, 1.0
	s_waitcnt vmcnt(2)
	v_mul_f32_e64 v5, v20, -v18
	v_mul_f32_e32 v7, v20, v17
	v_fmac_f32_e32 v5, v17, v19
	v_fmac_f32_e32 v7, v18, v19
	s_waitcnt vmcnt(0)
	v_sub_f32_e32 v5, v23, v5
	v_sub_f32_e32 v7, v24, v7
	v_rcp_f32_e32 v6, v3
	v_fma_f32 v8, -v3, v6, 1.0
	v_fmac_f32_e32 v6, v8, v6
	v_mul_f32_e32 v8, v4, v6
	v_fma_f32 v9, -v3, v8, v4
	v_fmac_f32_e32 v8, v9, v6
	v_fma_f32 v3, -v3, v8, v4
	v_div_fmas_f32 v3, v3, v6, v8
	v_mul_f32_e64 v4, v22, -v16
	v_mul_f32_e32 v6, v22, v15
	v_fmac_f32_e32 v4, v15, v21
	v_fmac_f32_e32 v6, v16, v21
	v_sub_f32_e32 v4, v5, v4
	v_sub_f32_e32 v5, v7, v6
	v_mul_f32_e32 v6, v14, v5
	v_mul_f32_e64 v7, v14, -v4
	v_fmac_f32_e32 v6, v4, v13
	v_fmac_f32_e32 v7, v5, v13
	v_div_fixup_f32 v0, v3, v0, 1.0
	v_mul_f32_e32 v3, v0, v6
	v_mul_f32_e32 v4, v0, v7
	global_store_dwordx2 v[11:12], v[3:4], off
	s_cbranch_scc1 .LBB7_30
.LBB7_31:
	s_endpgm
	.section	.rodata,"a",@progbits
	.p2align	6, 0x0
	.amdhsa_kernel _ZN9rocsparseL32gtsv_interleaved_batch_lu_kernelILj128E21rocsparse_complex_numIfEEEviiiPT0_S4_S4_S4_PiS4_
		.amdhsa_group_segment_fixed_size 0
		.amdhsa_private_segment_fixed_size 0
		.amdhsa_kernarg_size 64
		.amdhsa_user_sgpr_count 6
		.amdhsa_user_sgpr_private_segment_buffer 1
		.amdhsa_user_sgpr_dispatch_ptr 0
		.amdhsa_user_sgpr_queue_ptr 0
		.amdhsa_user_sgpr_kernarg_segment_ptr 1
		.amdhsa_user_sgpr_dispatch_id 0
		.amdhsa_user_sgpr_flat_scratch_init 0
		.amdhsa_user_sgpr_private_segment_size 0
		.amdhsa_uses_dynamic_stack 0
		.amdhsa_system_sgpr_private_segment_wavefront_offset 0
		.amdhsa_system_sgpr_workgroup_id_x 1
		.amdhsa_system_sgpr_workgroup_id_y 0
		.amdhsa_system_sgpr_workgroup_id_z 0
		.amdhsa_system_sgpr_workgroup_info 0
		.amdhsa_system_vgpr_workitem_id 0
		.amdhsa_next_free_vgpr 30
		.amdhsa_next_free_sgpr 26
		.amdhsa_reserve_vcc 1
		.amdhsa_reserve_flat_scratch 0
		.amdhsa_float_round_mode_32 0
		.amdhsa_float_round_mode_16_64 0
		.amdhsa_float_denorm_mode_32 3
		.amdhsa_float_denorm_mode_16_64 3
		.amdhsa_dx10_clamp 1
		.amdhsa_ieee_mode 1
		.amdhsa_fp16_overflow 0
		.amdhsa_exception_fp_ieee_invalid_op 0
		.amdhsa_exception_fp_denorm_src 0
		.amdhsa_exception_fp_ieee_div_zero 0
		.amdhsa_exception_fp_ieee_overflow 0
		.amdhsa_exception_fp_ieee_underflow 0
		.amdhsa_exception_fp_ieee_inexact 0
		.amdhsa_exception_int_div_zero 0
	.end_amdhsa_kernel
	.section	.text._ZN9rocsparseL32gtsv_interleaved_batch_lu_kernelILj128E21rocsparse_complex_numIfEEEviiiPT0_S4_S4_S4_PiS4_,"axG",@progbits,_ZN9rocsparseL32gtsv_interleaved_batch_lu_kernelILj128E21rocsparse_complex_numIfEEEviiiPT0_S4_S4_S4_PiS4_,comdat
.Lfunc_end7:
	.size	_ZN9rocsparseL32gtsv_interleaved_batch_lu_kernelILj128E21rocsparse_complex_numIfEEEviiiPT0_S4_S4_S4_PiS4_, .Lfunc_end7-_ZN9rocsparseL32gtsv_interleaved_batch_lu_kernelILj128E21rocsparse_complex_numIfEEEviiiPT0_S4_S4_S4_PiS4_
                                        ; -- End function
	.set _ZN9rocsparseL32gtsv_interleaved_batch_lu_kernelILj128E21rocsparse_complex_numIfEEEviiiPT0_S4_S4_S4_PiS4_.num_vgpr, 30
	.set _ZN9rocsparseL32gtsv_interleaved_batch_lu_kernelILj128E21rocsparse_complex_numIfEEEviiiPT0_S4_S4_S4_PiS4_.num_agpr, 0
	.set _ZN9rocsparseL32gtsv_interleaved_batch_lu_kernelILj128E21rocsparse_complex_numIfEEEviiiPT0_S4_S4_S4_PiS4_.numbered_sgpr, 26
	.set _ZN9rocsparseL32gtsv_interleaved_batch_lu_kernelILj128E21rocsparse_complex_numIfEEEviiiPT0_S4_S4_S4_PiS4_.num_named_barrier, 0
	.set _ZN9rocsparseL32gtsv_interleaved_batch_lu_kernelILj128E21rocsparse_complex_numIfEEEviiiPT0_S4_S4_S4_PiS4_.private_seg_size, 0
	.set _ZN9rocsparseL32gtsv_interleaved_batch_lu_kernelILj128E21rocsparse_complex_numIfEEEviiiPT0_S4_S4_S4_PiS4_.uses_vcc, 1
	.set _ZN9rocsparseL32gtsv_interleaved_batch_lu_kernelILj128E21rocsparse_complex_numIfEEEviiiPT0_S4_S4_S4_PiS4_.uses_flat_scratch, 0
	.set _ZN9rocsparseL32gtsv_interleaved_batch_lu_kernelILj128E21rocsparse_complex_numIfEEEviiiPT0_S4_S4_S4_PiS4_.has_dyn_sized_stack, 0
	.set _ZN9rocsparseL32gtsv_interleaved_batch_lu_kernelILj128E21rocsparse_complex_numIfEEEviiiPT0_S4_S4_S4_PiS4_.has_recursion, 0
	.set _ZN9rocsparseL32gtsv_interleaved_batch_lu_kernelILj128E21rocsparse_complex_numIfEEEviiiPT0_S4_S4_S4_PiS4_.has_indirect_call, 0
	.section	.AMDGPU.csdata,"",@progbits
; Kernel info:
; codeLenInByte = 3144
; TotalNumSgprs: 30
; NumVgprs: 30
; ScratchSize: 0
; MemoryBound: 0
; FloatMode: 240
; IeeeMode: 1
; LDSByteSize: 0 bytes/workgroup (compile time only)
; SGPRBlocks: 3
; VGPRBlocks: 7
; NumSGPRsForWavesPerEU: 30
; NumVGPRsForWavesPerEU: 30
; Occupancy: 8
; WaveLimiterHint : 0
; COMPUTE_PGM_RSRC2:SCRATCH_EN: 0
; COMPUTE_PGM_RSRC2:USER_SGPR: 6
; COMPUTE_PGM_RSRC2:TRAP_HANDLER: 0
; COMPUTE_PGM_RSRC2:TGID_X_EN: 1
; COMPUTE_PGM_RSRC2:TGID_Y_EN: 0
; COMPUTE_PGM_RSRC2:TGID_Z_EN: 0
; COMPUTE_PGM_RSRC2:TIDIG_COMP_CNT: 0
	.section	.text._ZN9rocsparseL32gtsv_interleaved_batch_qr_kernelILj128E21rocsparse_complex_numIfEEEviiiPKT0_PS3_S6_S6_S6_,"axG",@progbits,_ZN9rocsparseL32gtsv_interleaved_batch_qr_kernelILj128E21rocsparse_complex_numIfEEEviiiPKT0_PS3_S6_S6_S6_,comdat
	.globl	_ZN9rocsparseL32gtsv_interleaved_batch_qr_kernelILj128E21rocsparse_complex_numIfEEEviiiPKT0_PS3_S6_S6_S6_ ; -- Begin function _ZN9rocsparseL32gtsv_interleaved_batch_qr_kernelILj128E21rocsparse_complex_numIfEEEviiiPKT0_PS3_S6_S6_S6_
	.p2align	8
	.type	_ZN9rocsparseL32gtsv_interleaved_batch_qr_kernelILj128E21rocsparse_complex_numIfEEEviiiPKT0_PS3_S6_S6_S6_,@function
_ZN9rocsparseL32gtsv_interleaved_batch_qr_kernelILj128E21rocsparse_complex_numIfEEEviiiPKT0_PS3_S6_S6_S6_: ; @_ZN9rocsparseL32gtsv_interleaved_batch_qr_kernelILj128E21rocsparse_complex_numIfEEEviiiPKT0_PS3_S6_S6_S6_
; %bb.0:
	s_load_dwordx4 s[16:19], s[4:5], 0x0
	s_waitcnt lgkmcnt(0)
	s_lshl_b32 s19, s6, 7
	v_or_b32_e32 v1, s19, v0
	v_cmp_gt_i32_e32 vcc, s17, v1
	s_and_saveexec_b64 s[0:1], vcc
	s_cbranch_execz .LBB8_13
; %bb.1:
	s_load_dwordx8 s[8:15], s[4:5], 0x18
	s_add_i32 s20, s16, -1
	s_cmp_lt_i32 s16, 2
	s_cbranch_scc1 .LBB8_10
; %bb.2:
	v_ashrrev_i32_e32 v2, 31, v1
	v_lshlrev_b64 v[2:3], 3, v[1:2]
	s_waitcnt lgkmcnt(0)
	v_mov_b32_e32 v22, s9
	v_add_co_u32_e32 v4, vcc, s8, v2
	v_addc_co_u32_e32 v5, vcc, v22, v3, vcc
	v_mov_b32_e32 v23, s11
	v_add_co_u32_e32 v2, vcc, s10, v2
	v_addc_co_u32_e32 v3, vcc, v23, v3, vcc
	global_load_dwordx2 v[17:18], v[4:5], off
	s_load_dwordx2 s[2:3], s[4:5], 0x10
	global_load_dwordx2 v[2:3], v[2:3], off
	v_mov_b32_e32 v25, 0x260
	v_mov_b32_e32 v19, v1
	s_mov_b32 s21, s20
	s_waitcnt lgkmcnt(0)
	v_mov_b32_e32 v24, s3
	s_mov_b32 s3, 0xf800000
	v_mov_b32_e32 v4, v1
	s_branch .LBB8_4
.LBB8_3:                                ;   in Loop: Header=BB8_4 Depth=1
	s_or_b64 exec, exec, s[4:5]
	v_cmp_gt_f32_e32 vcc, s3, v27
	v_mul_f32_e32 v5, 0x4f800000, v27
	v_cndmask_b32_e32 v5, v27, v5, vcc
	v_sqrt_f32_e32 v26, v5
	s_add_i32 s21, s21, -1
	s_cmp_eq_u32 s21, 0
	v_add_u32_e32 v27, -1, v26
	v_fma_f32 v28, -v27, v26, v5
	v_cmp_ge_f32_e64 s[0:1], 0, v28
	v_add_u32_e32 v28, 1, v26
	v_cndmask_b32_e64 v27, v26, v27, s[0:1]
	v_fma_f32 v26, -v28, v26, v5
	v_cmp_lt_f32_e64 s[0:1], 0, v26
	v_cndmask_b32_e64 v26, v27, v28, s[0:1]
	v_mul_f32_e32 v27, 0x37800000, v26
	v_cndmask_b32_e32 v26, v26, v27, vcc
	v_cmp_class_f32_e32 vcc, v5, v25
	v_cndmask_b32_e32 v5, v26, v5, vcc
	v_fma_f32 v26, v5, v5, 0
	v_div_scale_f32 v27, s[0:1], v26, v26, 1.0
	v_rcp_f32_e32 v28, v27
	v_fma_f32 v29, -v27, v28, 1.0
	v_fmac_f32_e32 v28, v29, v28
	v_div_scale_f32 v29, vcc, 1.0, v26, 1.0
	v_mul_f32_e32 v30, v29, v28
	v_fma_f32 v31, -v27, v30, v29
	v_fmac_f32_e32 v30, v31, v28
	v_fma_f32 v27, -v27, v30, v29
	v_div_fmas_f32 v27, v27, v28, v30
	v_mul_f32_e32 v28, 0x80000000, v20
	v_fma_f32 v28, -v21, v5, v28
	v_div_fixup_f32 v26, v27, v26, 1.0
	v_mul_f32_e32 v27, 0x80000000, v21
	v_fmac_f32_e32 v27, v20, v5
	v_mul_f32_e32 v31, v28, v26
	v_mul_f32_e32 v30, v27, v26
	v_mul_f32_e64 v28, v31, -v21
	v_fmac_f32_e32 v28, v20, v30
	v_mul_f32_e32 v27, v31, v20
	v_mul_f32_e32 v20, 0x80000000, v18
	v_fmac_f32_e32 v27, v21, v30
	v_fmac_f32_e32 v20, v17, v5
	v_mul_f32_e32 v21, 0x80000000, v17
	v_fma_f32 v5, -v18, v5, v21
	v_mul_f32_e32 v21, v20, v26
	v_mul_f32_e32 v32, v5, v26
	v_fmac_f32_e32 v28, v17, v21
	v_fmac_f32_e32 v27, v18, v21
	v_ashrrev_i32_e32 v20, 31, v19
	v_fma_f32 v26, -v18, v32, v28
	v_fmac_f32_e32 v27, v17, v32
	v_lshlrev_b64 v[17:18], 3, v[19:20]
	v_mov_b32_e32 v5, s9
	v_add_co_u32_e32 v19, vcc, s8, v17
	v_addc_co_u32_e32 v20, vcc, v5, v18, vcc
	global_store_dwordx2 v[19:20], v[26:27], off
	v_mov_b32_e32 v5, s11
	v_add_co_u32_e32 v19, vcc, s10, v17
	v_addc_co_u32_e32 v20, vcc, v5, v18, vcc
	s_waitcnt vmcnt(2)
	v_mul_f32_e64 v5, v31, -v14
	v_mul_f32_e32 v27, v31, v13
	v_fmac_f32_e32 v5, v13, v30
	v_fmac_f32_e32 v27, v14, v30
	v_fmac_f32_e32 v5, v2, v21
	v_fmac_f32_e32 v27, v3, v21
	v_fma_f32 v26, -v3, v32, v5
	v_fmac_f32_e32 v27, v2, v32
	v_ashrrev_i32_e32 v5, 31, v4
	global_store_dwordx2 v[19:20], v[26:27], off
	v_lshlrev_b64 v[19:20], 3, v[4:5]
	v_mov_b32_e32 v26, s13
	v_add_co_u32_e32 v19, vcc, s12, v19
	v_addc_co_u32_e32 v20, vcc, v26, v20, vcc
	s_waitcnt vmcnt(2)
	v_mul_f32_e64 v26, v31, -v12
	v_mul_f32_e32 v27, v31, v11
	v_mov_b32_e32 v5, s15
	v_add_co_u32_e32 v15, vcc, s14, v15
	v_fmac_f32_e32 v26, v11, v30
	v_fmac_f32_e32 v27, v12, v30
	v_addc_co_u32_e32 v16, vcc, v5, v16, vcc
	global_store_dwordx2 v[19:20], v[26:27], off
	v_add_co_u32_e32 v17, vcc, s14, v17
	global_load_dwordx2 v[19:20], v[15:16], off
	v_addc_co_u32_e32 v18, vcc, v5, v18, vcc
	global_load_dwordx2 v[26:27], v[17:18], off
	v_add_u32_e32 v4, s17, v4
	s_waitcnt vmcnt(1)
	v_mul_f32_e64 v5, v31, -v20
	v_fmac_f32_e32 v5, v19, v30
	v_mul_f32_e32 v29, v31, v19
	s_waitcnt vmcnt(0)
	v_fmac_f32_e32 v5, v26, v21
	v_fma_f32 v28, -v27, v32, v5
	v_fmac_f32_e32 v29, v20, v30
	v_mul_f32_e32 v5, v32, v14
	v_fmac_f32_e32 v29, v27, v21
	v_fmac_f32_e32 v5, v13, v21
	v_mul_f32_e64 v13, v13, -v32
	v_fmac_f32_e32 v29, v26, v32
	v_fmac_f32_e32 v13, v14, v21
	global_store_dwordx2 v[17:18], v[28:29], off
	v_fma_f32 v5, -v2, v30, v5
	v_fma_f32 v18, -v3, v30, v13
	v_fma_f32 v17, v3, -v31, v5
	v_fmac_f32_e32 v18, v2, v31
	global_store_dwordx2 v[7:8], v[17:18], off
	v_mul_f32_e32 v5, v32, v20
	v_mul_f32_e64 v8, -v32, v19
	v_fmac_f32_e32 v5, v19, v21
	v_fmac_f32_e32 v8, v20, v21
	v_mul_f32_e32 v2, v32, v12
	v_mul_f32_e64 v3, v11, -v32
	v_fma_f32 v5, -v26, v30, v5
	v_fma_f32 v8, -v27, v30, v8
	v_fmac_f32_e32 v2, v11, v21
	v_fmac_f32_e32 v3, v12, v21
	v_fma_f32 v7, v27, -v31, v5
	v_fmac_f32_e32 v8, v26, v31
	v_mov_b32_e32 v19, v6
	global_store_dwordx2 v[9:10], v[2:3], off
	global_store_dwordx2 v[15:16], v[7:8], off
	s_cbranch_scc1 .LBB8_10
.LBB8_4:                                ; =>This Inner Loop Header: Depth=1
	v_add_u32_e32 v6, s18, v19
	v_ashrrev_i32_e32 v7, 31, v6
	v_lshlrev_b64 v[15:16], 3, v[6:7]
	s_waitcnt vmcnt(1)
	v_mul_f32_e64 v26, v17, -v18
	v_add_co_u32_e32 v7, vcc, s2, v15
	v_addc_co_u32_e32 v8, vcc, v24, v16, vcc
	global_load_dwordx2 v[20:21], v[7:8], off
	v_add_co_u32_e32 v7, vcc, s8, v15
	v_addc_co_u32_e32 v8, vcc, v22, v16, vcc
	v_add_co_u32_e32 v9, vcc, s10, v15
	v_addc_co_u32_e32 v10, vcc, v23, v16, vcc
	global_load_dwordx2 v[13:14], v[7:8], off
	global_load_dwordx2 v[11:12], v[9:10], off
	v_fmac_f32_e32 v26, v18, v17
	v_mul_f32_e32 v5, v18, v18
	v_fmac_f32_e32 v5, v17, v17
	s_waitcnt vmcnt(2)
	v_mul_f32_e64 v28, v20, -v21
	v_fmac_f32_e32 v28, v21, v20
	v_mul_f32_e32 v27, v21, v21
	v_add_f32_e32 v28, v28, v26
	v_fmac_f32_e32 v27, v20, v20
	v_cmp_gt_f32_e32 vcc, 0, v28
	v_add_f32_e32 v5, v27, v5
	v_cndmask_b32_e64 v26, v28, -v28, vcc
	v_cmp_ngt_f32_e32 vcc, v5, v26
                                        ; implicit-def: $vgpr27
	s_and_saveexec_b64 s[0:1], vcc
	s_xor_b64 s[4:5], exec, s[0:1]
	s_cbranch_execz .LBB8_8
; %bb.5:                                ;   in Loop: Header=BB8_4 Depth=1
	v_mov_b32_e32 v27, 0
	v_cmp_neq_f32_e32 vcc, 0, v28
	s_and_saveexec_b64 s[6:7], vcc
	s_cbranch_execz .LBB8_7
; %bb.6:                                ;   in Loop: Header=BB8_4 Depth=1
	v_div_scale_f32 v27, s[0:1], v26, v26, v5
	v_div_scale_f32 v28, vcc, v5, v26, v5
	v_rcp_f32_e32 v29, v27
	v_fma_f32 v30, -v27, v29, 1.0
	v_fmac_f32_e32 v29, v30, v29
	v_mul_f32_e32 v30, v28, v29
	v_fma_f32 v31, -v27, v30, v28
	v_fmac_f32_e32 v30, v31, v29
	v_fma_f32 v27, -v27, v30, v28
	v_div_fmas_f32 v27, v27, v29, v30
	v_div_fixup_f32 v5, v27, v26, v5
	v_fma_f32 v5, v5, v5, 1.0
	v_mul_f32_e32 v27, 0x4f800000, v5
	v_cmp_gt_f32_e32 vcc, s3, v5
	v_cndmask_b32_e32 v5, v5, v27, vcc
	v_sqrt_f32_e32 v27, v5
	v_add_u32_e32 v28, -1, v27
	v_add_u32_e32 v29, 1, v27
	v_fma_f32 v30, -v28, v27, v5
	v_fma_f32 v31, -v29, v27, v5
	v_cmp_ge_f32_e64 s[0:1], 0, v30
	v_cndmask_b32_e64 v27, v27, v28, s[0:1]
	v_cmp_lt_f32_e64 s[0:1], 0, v31
	v_cndmask_b32_e64 v27, v27, v29, s[0:1]
	v_mul_f32_e32 v28, 0x37800000, v27
	v_cndmask_b32_e32 v27, v27, v28, vcc
	v_cmp_class_f32_e32 vcc, v5, v25
	v_cndmask_b32_e32 v5, v27, v5, vcc
	v_mul_f32_e32 v27, v26, v5
.LBB8_7:                                ;   in Loop: Header=BB8_4 Depth=1
	s_or_b64 exec, exec, s[6:7]
                                        ; implicit-def: $vgpr5
                                        ; implicit-def: $vgpr26
.LBB8_8:                                ;   in Loop: Header=BB8_4 Depth=1
	s_andn2_saveexec_b64 s[4:5], s[4:5]
	s_cbranch_execz .LBB8_3
; %bb.9:                                ;   in Loop: Header=BB8_4 Depth=1
	v_div_scale_f32 v27, s[0:1], v5, v5, v26
	v_div_scale_f32 v28, vcc, v26, v5, v26
	v_rcp_f32_e32 v29, v27
	v_fma_f32 v30, -v27, v29, 1.0
	v_fmac_f32_e32 v29, v30, v29
	v_mul_f32_e32 v30, v28, v29
	v_fma_f32 v31, -v27, v30, v28
	v_fmac_f32_e32 v30, v31, v29
	v_fma_f32 v27, -v27, v30, v28
	v_div_fmas_f32 v27, v27, v29, v30
	v_div_fixup_f32 v26, v27, v5, v26
	v_fma_f32 v26, v26, v26, 1.0
	v_mul_f32_e32 v27, 0x4f800000, v26
	v_cmp_gt_f32_e32 vcc, s3, v26
	v_cndmask_b32_e32 v26, v26, v27, vcc
	v_sqrt_f32_e32 v27, v26
	v_add_u32_e32 v28, -1, v27
	v_add_u32_e32 v29, 1, v27
	v_fma_f32 v30, -v28, v27, v26
	v_fma_f32 v31, -v29, v27, v26
	v_cmp_ge_f32_e64 s[0:1], 0, v30
	v_cndmask_b32_e64 v27, v27, v28, s[0:1]
	v_cmp_lt_f32_e64 s[0:1], 0, v31
	v_cndmask_b32_e64 v27, v27, v29, s[0:1]
	v_mul_f32_e32 v28, 0x37800000, v27
	v_cndmask_b32_e32 v27, v27, v28, vcc
	v_cmp_class_f32_e32 vcc, v26, v25
	v_cndmask_b32_e32 v26, v27, v26, vcc
	v_mul_f32_e32 v27, v5, v26
	s_branch .LBB8_3
.LBB8_10:
	s_mul_i32 s0, s18, s20
	v_add_u32_e32 v2, s0, v1
	v_ashrrev_i32_e32 v3, 31, v2
	v_lshlrev_b64 v[2:3], 3, v[2:3]
	s_waitcnt lgkmcnt(0)
	v_mov_b32_e32 v5, s9
	v_add_co_u32_e32 v4, vcc, s8, v2
	v_addc_co_u32_e32 v5, vcc, v5, v3, vcc
	global_load_dwordx2 v[4:5], v[4:5], off
	v_mov_b32_e32 v6, s15
	v_add_co_u32_e32 v2, vcc, s14, v2
	v_addc_co_u32_e32 v3, vcc, v6, v3, vcc
	global_load_dwordx2 v[6:7], v[2:3], off
	s_sub_i32 s1, s0, s18
	v_add_u32_e32 v8, s1, v1
	v_ashrrev_i32_e32 v9, 31, v8
	v_lshlrev_b64 v[8:9], 3, v[8:9]
	v_mov_b32_e32 v11, s9
	v_add_co_u32_e32 v10, vcc, s8, v8
	v_addc_co_u32_e32 v11, vcc, v11, v9, vcc
	global_load_dwordx2 v[10:11], v[10:11], off
	s_cmp_lt_i32 s16, 3
	s_waitcnt vmcnt(2)
	v_mul_f32_e32 v14, v5, v5
	v_fmac_f32_e32 v14, v4, v4
	v_div_scale_f32 v12, s[2:3], v14, v14, 1.0
	v_div_scale_f32 v13, vcc, 1.0, v14, 1.0
	v_rcp_f32_e32 v15, v12
	v_fma_f32 v16, -v12, v15, 1.0
	v_fmac_f32_e32 v15, v16, v15
	v_mul_f32_e32 v16, v13, v15
	v_fma_f32 v17, -v12, v16, v13
	v_fmac_f32_e32 v16, v17, v15
	v_fma_f32 v12, -v12, v16, v13
	v_div_fmas_f32 v15, v12, v15, v16
	v_mov_b32_e32 v13, s15
	v_add_co_u32_e32 v12, vcc, s14, v8
	v_addc_co_u32_e32 v13, vcc, v13, v9, vcc
	v_mov_b32_e32 v16, s11
	v_add_co_u32_e32 v8, vcc, s10, v8
	v_addc_co_u32_e32 v9, vcc, v16, v9, vcc
	s_waitcnt vmcnt(1)
	v_mul_f32_e32 v16, v5, v7
	v_mul_f32_e64 v5, v5, -v6
	v_fmac_f32_e32 v16, v6, v4
	v_fmac_f32_e32 v5, v7, v4
	global_load_dwordx2 v[8:9], v[8:9], off
	v_div_fixup_f32 v6, v15, v14, 1.0
	v_mul_f32_e32 v4, v6, v16
	v_mul_f32_e32 v5, v5, v6
	global_store_dwordx2 v[2:3], v[4:5], off
	global_load_dwordx2 v[2:3], v[12:13], off
	s_waitcnt vmcnt(3)
	v_mul_f32_e32 v6, v11, v11
	v_fmac_f32_e32 v6, v10, v10
	v_div_scale_f32 v7, s[2:3], v6, v6, 1.0
	v_div_scale_f32 v14, vcc, 1.0, v6, 1.0
	v_rcp_f32_e32 v15, v7
	v_fma_f32 v16, -v7, v15, 1.0
	v_fmac_f32_e32 v15, v16, v15
	v_mul_f32_e32 v16, v14, v15
	v_fma_f32 v17, -v7, v16, v14
	v_fmac_f32_e32 v16, v17, v15
	v_fma_f32 v7, -v7, v16, v14
	v_div_fmas_f32 v7, v7, v15, v16
	v_div_fixup_f32 v6, v7, v6, 1.0
	s_waitcnt vmcnt(2)
	v_mul_f32_e64 v7, v5, -v9
	v_mul_f32_e32 v5, v5, v8
	v_fmac_f32_e32 v7, v8, v4
	v_fmac_f32_e32 v5, v9, v4
	s_waitcnt vmcnt(0)
	v_sub_f32_e32 v2, v2, v7
	v_sub_f32_e32 v3, v3, v5
	v_mul_f32_e32 v4, v11, v3
	v_mul_f32_e64 v5, v11, -v2
	v_fmac_f32_e32 v4, v2, v10
	v_fmac_f32_e32 v5, v3, v10
	v_mul_f32_e32 v2, v6, v4
	v_mul_f32_e32 v3, v5, v6
	global_store_dwordx2 v[12:13], v[2:3], off
	s_cbranch_scc1 .LBB8_13
; %bb.11:
	s_add_i32 s3, s16, -3
	s_mul_i32 s2, s17, s3
	s_add_i32 s1, s16, -2
	s_add_i32 s19, s19, s2
	v_add_u32_e32 v2, s19, v0
	s_mul_i32 s2, s18, s1
	s_mul_i32 s3, s18, s3
.LBB8_12:                               ; =>This Inner Loop Header: Depth=1
	v_ashrrev_i32_e32 v3, 31, v2
	v_add_u32_e32 v4, s3, v1
	v_add_u32_e32 v6, s2, v1
	v_add_u32_e32 v8, s0, v1
	v_lshlrev_b64 v[10:11], 3, v[2:3]
	v_ashrrev_i32_e32 v5, 31, v4
	v_ashrrev_i32_e32 v7, 31, v6
	;; [unrolled: 1-line block ×3, first 2 shown]
	v_mov_b32_e32 v12, s13
	v_lshlrev_b64 v[3:4], 3, v[4:5]
	v_lshlrev_b64 v[5:6], 3, v[6:7]
	v_lshlrev_b64 v[7:8], 3, v[8:9]
	v_add_co_u32_e32 v9, vcc, s12, v10
	v_addc_co_u32_e32 v10, vcc, v12, v11, vcc
	v_mov_b32_e32 v0, s15
	v_add_co_u32_e32 v11, vcc, s14, v3
	v_addc_co_u32_e32 v12, vcc, v0, v4, vcc
	v_mov_b32_e32 v14, s9
	v_add_co_u32_e32 v13, vcc, s8, v3
	v_addc_co_u32_e32 v14, vcc, v14, v4, vcc
	global_load_dwordx2 v[13:14], v[13:14], off
	v_mov_b32_e32 v15, s11
	v_add_co_u32_e32 v3, vcc, s10, v3
	v_addc_co_u32_e32 v4, vcc, v15, v4, vcc
	v_add_co_u32_e32 v5, vcc, s14, v5
	v_addc_co_u32_e32 v6, vcc, v0, v6, vcc
	;; [unrolled: 2-line block ×3, first 2 shown]
	global_load_dwordx2 v[15:16], v[9:10], off
	global_load_dwordx2 v[17:18], v[3:4], off
	;; [unrolled: 1-line block ×5, first 2 shown]
	s_add_i32 s1, s1, -1
	v_subrev_u32_e32 v1, s18, v1
	v_subrev_u32_e32 v2, s17, v2
	s_cmp_lg_u32 s1, 0
	s_waitcnt vmcnt(5)
	v_mul_f32_e32 v0, v14, v14
	v_fmac_f32_e32 v0, v13, v13
	v_div_scale_f32 v3, s[4:5], v0, v0, 1.0
	v_div_scale_f32 v4, vcc, 1.0, v0, 1.0
	s_waitcnt vmcnt(2)
	v_mul_f32_e64 v5, v20, -v18
	v_mul_f32_e32 v7, v20, v17
	v_fmac_f32_e32 v5, v17, v19
	v_fmac_f32_e32 v7, v18, v19
	s_waitcnt vmcnt(0)
	v_sub_f32_e32 v5, v23, v5
	v_sub_f32_e32 v7, v24, v7
	v_rcp_f32_e32 v6, v3
	v_fma_f32 v8, -v3, v6, 1.0
	v_fmac_f32_e32 v6, v8, v6
	v_mul_f32_e32 v8, v4, v6
	v_fma_f32 v9, -v3, v8, v4
	v_fmac_f32_e32 v8, v9, v6
	v_fma_f32 v3, -v3, v8, v4
	v_div_fmas_f32 v3, v3, v6, v8
	v_mul_f32_e64 v4, v22, -v16
	v_mul_f32_e32 v6, v22, v15
	v_fmac_f32_e32 v4, v15, v21
	v_fmac_f32_e32 v6, v16, v21
	v_sub_f32_e32 v4, v5, v4
	v_sub_f32_e32 v5, v7, v6
	v_mul_f32_e32 v6, v14, v5
	v_mul_f32_e64 v7, v14, -v4
	v_fmac_f32_e32 v6, v4, v13
	v_fmac_f32_e32 v7, v5, v13
	v_div_fixup_f32 v0, v3, v0, 1.0
	v_mul_f32_e32 v3, v0, v6
	v_mul_f32_e32 v4, v0, v7
	global_store_dwordx2 v[11:12], v[3:4], off
	s_cbranch_scc1 .LBB8_12
.LBB8_13:
	s_endpgm
	.section	.rodata,"a",@progbits
	.p2align	6, 0x0
	.amdhsa_kernel _ZN9rocsparseL32gtsv_interleaved_batch_qr_kernelILj128E21rocsparse_complex_numIfEEEviiiPKT0_PS3_S6_S6_S6_
		.amdhsa_group_segment_fixed_size 0
		.amdhsa_private_segment_fixed_size 0
		.amdhsa_kernarg_size 56
		.amdhsa_user_sgpr_count 6
		.amdhsa_user_sgpr_private_segment_buffer 1
		.amdhsa_user_sgpr_dispatch_ptr 0
		.amdhsa_user_sgpr_queue_ptr 0
		.amdhsa_user_sgpr_kernarg_segment_ptr 1
		.amdhsa_user_sgpr_dispatch_id 0
		.amdhsa_user_sgpr_flat_scratch_init 0
		.amdhsa_user_sgpr_private_segment_size 0
		.amdhsa_uses_dynamic_stack 0
		.amdhsa_system_sgpr_private_segment_wavefront_offset 0
		.amdhsa_system_sgpr_workgroup_id_x 1
		.amdhsa_system_sgpr_workgroup_id_y 0
		.amdhsa_system_sgpr_workgroup_id_z 0
		.amdhsa_system_sgpr_workgroup_info 0
		.amdhsa_system_vgpr_workitem_id 0
		.amdhsa_next_free_vgpr 33
		.amdhsa_next_free_sgpr 22
		.amdhsa_reserve_vcc 1
		.amdhsa_reserve_flat_scratch 0
		.amdhsa_float_round_mode_32 0
		.amdhsa_float_round_mode_16_64 0
		.amdhsa_float_denorm_mode_32 3
		.amdhsa_float_denorm_mode_16_64 3
		.amdhsa_dx10_clamp 1
		.amdhsa_ieee_mode 1
		.amdhsa_fp16_overflow 0
		.amdhsa_exception_fp_ieee_invalid_op 0
		.amdhsa_exception_fp_denorm_src 0
		.amdhsa_exception_fp_ieee_div_zero 0
		.amdhsa_exception_fp_ieee_overflow 0
		.amdhsa_exception_fp_ieee_underflow 0
		.amdhsa_exception_fp_ieee_inexact 0
		.amdhsa_exception_int_div_zero 0
	.end_amdhsa_kernel
	.section	.text._ZN9rocsparseL32gtsv_interleaved_batch_qr_kernelILj128E21rocsparse_complex_numIfEEEviiiPKT0_PS3_S6_S6_S6_,"axG",@progbits,_ZN9rocsparseL32gtsv_interleaved_batch_qr_kernelILj128E21rocsparse_complex_numIfEEEviiiPKT0_PS3_S6_S6_S6_,comdat
.Lfunc_end8:
	.size	_ZN9rocsparseL32gtsv_interleaved_batch_qr_kernelILj128E21rocsparse_complex_numIfEEEviiiPKT0_PS3_S6_S6_S6_, .Lfunc_end8-_ZN9rocsparseL32gtsv_interleaved_batch_qr_kernelILj128E21rocsparse_complex_numIfEEEviiiPKT0_PS3_S6_S6_S6_
                                        ; -- End function
	.set _ZN9rocsparseL32gtsv_interleaved_batch_qr_kernelILj128E21rocsparse_complex_numIfEEEviiiPKT0_PS3_S6_S6_S6_.num_vgpr, 33
	.set _ZN9rocsparseL32gtsv_interleaved_batch_qr_kernelILj128E21rocsparse_complex_numIfEEEviiiPKT0_PS3_S6_S6_S6_.num_agpr, 0
	.set _ZN9rocsparseL32gtsv_interleaved_batch_qr_kernelILj128E21rocsparse_complex_numIfEEEviiiPKT0_PS3_S6_S6_S6_.numbered_sgpr, 22
	.set _ZN9rocsparseL32gtsv_interleaved_batch_qr_kernelILj128E21rocsparse_complex_numIfEEEviiiPKT0_PS3_S6_S6_S6_.num_named_barrier, 0
	.set _ZN9rocsparseL32gtsv_interleaved_batch_qr_kernelILj128E21rocsparse_complex_numIfEEEviiiPKT0_PS3_S6_S6_S6_.private_seg_size, 0
	.set _ZN9rocsparseL32gtsv_interleaved_batch_qr_kernelILj128E21rocsparse_complex_numIfEEEviiiPKT0_PS3_S6_S6_S6_.uses_vcc, 1
	.set _ZN9rocsparseL32gtsv_interleaved_batch_qr_kernelILj128E21rocsparse_complex_numIfEEEviiiPKT0_PS3_S6_S6_S6_.uses_flat_scratch, 0
	.set _ZN9rocsparseL32gtsv_interleaved_batch_qr_kernelILj128E21rocsparse_complex_numIfEEEviiiPKT0_PS3_S6_S6_S6_.has_dyn_sized_stack, 0
	.set _ZN9rocsparseL32gtsv_interleaved_batch_qr_kernelILj128E21rocsparse_complex_numIfEEEviiiPKT0_PS3_S6_S6_S6_.has_recursion, 0
	.set _ZN9rocsparseL32gtsv_interleaved_batch_qr_kernelILj128E21rocsparse_complex_numIfEEEviiiPKT0_PS3_S6_S6_S6_.has_indirect_call, 0
	.section	.AMDGPU.csdata,"",@progbits
; Kernel info:
; codeLenInByte = 2232
; TotalNumSgprs: 26
; NumVgprs: 33
; ScratchSize: 0
; MemoryBound: 0
; FloatMode: 240
; IeeeMode: 1
; LDSByteSize: 0 bytes/workgroup (compile time only)
; SGPRBlocks: 3
; VGPRBlocks: 8
; NumSGPRsForWavesPerEU: 26
; NumVGPRsForWavesPerEU: 33
; Occupancy: 7
; WaveLimiterHint : 0
; COMPUTE_PGM_RSRC2:SCRATCH_EN: 0
; COMPUTE_PGM_RSRC2:USER_SGPR: 6
; COMPUTE_PGM_RSRC2:TRAP_HANDLER: 0
; COMPUTE_PGM_RSRC2:TGID_X_EN: 1
; COMPUTE_PGM_RSRC2:TGID_Y_EN: 0
; COMPUTE_PGM_RSRC2:TGID_Z_EN: 0
; COMPUTE_PGM_RSRC2:TIDIG_COMP_CNT: 0
	.section	.text._ZN9rocsparseL36gtsv_interleaved_batch_thomas_kernelILj128E21rocsparse_complex_numIdEEEviiiPKT0_S5_S5_PS3_S6_S6_,"axG",@progbits,_ZN9rocsparseL36gtsv_interleaved_batch_thomas_kernelILj128E21rocsparse_complex_numIdEEEviiiPKT0_S5_S5_PS3_S6_S6_,comdat
	.globl	_ZN9rocsparseL36gtsv_interleaved_batch_thomas_kernelILj128E21rocsparse_complex_numIdEEEviiiPKT0_S5_S5_PS3_S6_S6_ ; -- Begin function _ZN9rocsparseL36gtsv_interleaved_batch_thomas_kernelILj128E21rocsparse_complex_numIdEEEviiiPKT0_S5_S5_PS3_S6_S6_
	.p2align	8
	.type	_ZN9rocsparseL36gtsv_interleaved_batch_thomas_kernelILj128E21rocsparse_complex_numIdEEEviiiPKT0_S5_S5_PS3_S6_S6_,@function
_ZN9rocsparseL36gtsv_interleaved_batch_thomas_kernelILj128E21rocsparse_complex_numIdEEEviiiPKT0_S5_S5_PS3_S6_S6_: ; @_ZN9rocsparseL36gtsv_interleaved_batch_thomas_kernelILj128E21rocsparse_complex_numIdEEEviiiPKT0_S5_S5_PS3_S6_S6_
; %bb.0:
	s_load_dwordx4 s[16:19], s[4:5], 0x0
	s_lshl_b32 s26, s6, 7
	v_or_b32_e32 v1, s26, v0
	s_waitcnt lgkmcnt(0)
	v_cmp_gt_i32_e32 vcc, s17, v1
	s_and_saveexec_b64 s[0:1], vcc
	s_cbranch_execz .LBB9_8
; %bb.1:
	s_load_dwordx8 s[8:15], s[4:5], 0x18
	v_ashrrev_i32_e32 v2, 31, v1
	v_lshlrev_b64 v[3:4], 4, v[1:2]
	s_load_dwordx2 s[0:1], s[4:5], 0x38
	s_cmp_lt_i32 s16, 2
	s_waitcnt lgkmcnt(0)
	v_mov_b32_e32 v2, s9
	v_add_co_u32_e32 v1, vcc, s8, v3
	v_addc_co_u32_e32 v2, vcc, v2, v4, vcc
	global_load_dwordx4 v[5:8], v[1:2], off
	v_mov_b32_e32 v13, s1
	s_waitcnt vmcnt(0)
	v_mul_f64 v[1:2], v[7:8], v[7:8]
	v_fma_f64 v[17:18], v[5:6], v[5:6], v[1:2]
	v_mov_b32_e32 v2, s11
	v_add_co_u32_e32 v1, vcc, s10, v3
	v_addc_co_u32_e32 v2, vcc, v2, v4, vcc
	global_load_dwordx4 v[9:12], v[1:2], off
	v_add_co_u32_e32 v1, vcc, s0, v3
	v_div_scale_f64 v[19:20], s[2:3], v[17:18], v[17:18], 1.0
	v_addc_co_u32_e32 v2, vcc, v13, v4, vcc
	global_load_dwordx4 v[13:16], v[1:2], off
	s_mov_b64 s[2:3], -1
	v_rcp_f64_e32 v[21:22], v[19:20]
	v_fma_f64 v[23:24], -v[19:20], v[21:22], 1.0
	v_fma_f64 v[21:22], v[21:22], v[23:24], v[21:22]
	v_div_scale_f64 v[23:24], vcc, 1.0, v[17:18], 1.0
	v_fma_f64 v[25:26], -v[19:20], v[21:22], 1.0
	v_fma_f64 v[21:22], v[21:22], v[25:26], v[21:22]
	v_mul_f64 v[25:26], v[23:24], v[21:22]
	v_fma_f64 v[19:20], -v[19:20], v[25:26], v[23:24]
	s_waitcnt vmcnt(1)
	v_mul_f64 v[23:24], v[7:8], -v[9:10]
	v_div_fmas_f64 v[19:20], v[19:20], v[21:22], v[25:26]
	v_mul_f64 v[21:22], v[7:8], v[11:12]
	s_waitcnt vmcnt(0)
	v_mul_f64 v[25:26], v[7:8], v[15:16]
	v_mul_f64 v[7:8], v[7:8], -v[13:14]
	v_fma_f64 v[11:12], v[11:12], v[5:6], v[23:24]
	v_fma_f64 v[9:10], v[9:10], v[5:6], v[21:22]
	v_fma_f64 v[13:14], v[13:14], v[5:6], v[25:26]
	v_fma_f64 v[5:6], v[15:16], v[5:6], v[7:8]
	v_mov_b32_e32 v7, s13
	v_mov_b32_e32 v8, s15
	v_div_fixup_f64 v[17:18], v[19:20], v[17:18], 1.0
	v_mul_f64 v[9:10], v[17:18], v[9:10]
	v_mul_f64 v[11:12], v[17:18], v[11:12]
	;; [unrolled: 1-line block ×4, first 2 shown]
	v_add_co_u32_e32 v5, vcc, s12, v3
	v_addc_co_u32_e32 v6, vcc, v7, v4, vcc
	v_add_co_u32_e32 v7, vcc, s14, v3
	v_addc_co_u32_e32 v8, vcc, v8, v4, vcc
	global_store_dwordx4 v[5:6], v[9:12], off
	global_store_dwordx4 v[7:8], v[13:16], off
	s_cbranch_scc0 .LBB9_3
; %bb.2:
	s_add_i32 s6, s16, -1
	s_mul_i32 s2, s17, s6
	s_ashr_i32 s3, s2, 31
	s_lshl_b64 s[2:3], s[2:3], 4
	v_mov_b32_e32 v10, s3
	v_add_co_u32_e32 v9, vcc, s2, v7
	v_addc_co_u32_e32 v10, vcc, v8, v10, vcc
	global_load_dwordx4 v[9:12], v[9:10], off
	s_mul_i32 s2, s18, s6
	s_ashr_i32 s3, s2, 31
	s_lshl_b64 s[2:3], s[2:3], 4
	v_mov_b32_e32 v14, s3
	v_add_co_u32_e32 v13, vcc, s2, v1
	v_addc_co_u32_e32 v14, vcc, v2, v14, vcc
	s_mov_b64 s[2:3], 0
	s_waitcnt vmcnt(0)
	global_store_dwordx4 v[13:14], v[9:12], off
.LBB9_3:
	s_andn2_b64 vcc, exec, s[2:3]
	s_cbranch_vccnz .LBB9_8
; %bb.4:
	s_ashr_i32 s19, s18, 31
	s_lshl_b64 s[6:7], s[18:19], 4
	s_add_i32 s22, s16, -1
	s_or_b32 s2, s6, 8
	s_add_u32 s19, s0, s2
	s_addc_u32 s23, s1, s7
	s_ashr_i32 s1, s17, 31
	s_mov_b32 s0, s17
	s_lshl_b64 s[20:21], s[0:1], 4
	s_or_b32 s0, s20, 8
	s_add_u32 s12, s12, s0
	s_addc_u32 s13, s13, s21
	s_add_u32 s24, s8, s2
	s_load_dwordx2 s[4:5], s[4:5], 0x10
	s_addc_u32 s25, s9, s7
	s_add_u32 s14, s14, s0
	s_addc_u32 s15, s15, s21
	s_add_u32 s10, s10, s2
	s_addc_u32 s11, s11, s7
	s_add_i32 s26, s26, s18
	v_add_u32_e32 v9, s26, v0
	s_mov_b32 s8, 0
	s_waitcnt lgkmcnt(0)
	v_mov_b32_e32 v0, s5
	s_mov_b32 s5, s22
.LBB9_5:                                ; =>This Inner Loop Header: Depth=1
	s_ashr_i32 s9, s8, 31
	v_mov_b32_e32 v12, s11
	v_add_co_u32_e32 v26, vcc, s10, v3
	v_mov_b32_e32 v13, s25
	v_add_co_u32_e64 v28, s[0:1], s24, v3
	v_mov_b32_e32 v14, s13
	v_add_co_u32_e64 v30, s[2:3], s12, v3
	v_ashrrev_i32_e32 v10, 31, v9
	s_lshl_b64 s[26:27], s[8:9], 4
	v_addc_co_u32_e32 v27, vcc, v12, v4, vcc
	v_addc_co_u32_e64 v29, vcc, v13, v4, s[0:1]
	v_addc_co_u32_e64 v31, vcc, v14, v4, s[2:3]
	v_lshlrev_b64 v[10:11], 4, v[9:10]
	v_mov_b32_e32 v36, s27
	v_add_co_u32_e32 v32, vcc, s26, v5
	v_addc_co_u32_e32 v33, vcc, v6, v36, vcc
	v_add_co_u32_e32 v34, vcc, s4, v10
	v_addc_co_u32_e32 v35, vcc, v0, v11, vcc
	global_load_dwordx4 v[10:13], v[32:33], off
	global_load_dwordx4 v[14:17], v[34:35], off
	global_load_dwordx4 v[18:21], v[28:29], off offset:-8
	global_load_dwordx4 v[22:25], v[26:27], off offset:-8
	s_add_i32 s5, s5, -1
	s_add_i32 s8, s8, s17
	v_add_u32_e32 v9, s18, v9
	s_waitcnt vmcnt(2)
	v_mul_f64 v[26:27], v[16:17], v[10:11]
	v_mul_f64 v[28:29], v[16:17], -v[12:13]
	v_fma_f64 v[12:13], v[12:13], v[14:15], v[26:27]
	v_fma_f64 v[10:11], v[10:11], v[14:15], v[28:29]
	s_waitcnt vmcnt(1)
	v_add_f64 v[12:13], v[20:21], -v[12:13]
	v_add_f64 v[10:11], v[18:19], -v[10:11]
	v_mul_f64 v[26:27], v[12:13], v[12:13]
	s_waitcnt vmcnt(0)
	v_mul_f64 v[28:29], v[24:25], v[12:13]
	v_mul_f64 v[12:13], v[12:13], -v[22:23]
	v_fma_f64 v[26:27], v[10:11], v[10:11], v[26:27]
	v_fma_f64 v[22:23], v[22:23], v[10:11], v[28:29]
	v_fma_f64 v[12:13], v[24:25], v[10:11], v[12:13]
	v_div_scale_f64 v[10:11], s[0:1], v[26:27], v[26:27], 1.0
	v_div_scale_f64 v[24:25], vcc, 1.0, v[26:27], 1.0
	v_rcp_f64_e32 v[28:29], v[10:11]
	v_fma_f64 v[34:35], -v[10:11], v[28:29], 1.0
	v_fma_f64 v[28:29], v[28:29], v[34:35], v[28:29]
	v_fma_f64 v[34:35], -v[10:11], v[28:29], 1.0
	v_fma_f64 v[28:29], v[28:29], v[34:35], v[28:29]
	v_mul_f64 v[34:35], v[24:25], v[28:29]
	v_fma_f64 v[10:11], -v[10:11], v[34:35], v[24:25]
	v_div_fmas_f64 v[10:11], v[10:11], v[28:29], v[34:35]
	v_mov_b32_e32 v29, s23
	v_div_fixup_f64 v[24:25], v[10:11], v[26:27], 1.0
	v_mul_f64 v[10:11], v[22:23], v[24:25]
	v_mul_f64 v[12:13], v[12:13], v[24:25]
	v_add_co_u32_e64 v23, s[0:1], s26, v7
	v_addc_co_u32_e64 v24, s[0:1], v8, v36, s[0:1]
	v_add_co_u32_e32 v22, vcc, s19, v3
	s_add_u32 s19, s19, s6
	global_store_dwordx4 v[30:31], v[10:13], off offset:-8
	global_load_dwordx4 v[10:13], v[32:33], off
	s_addc_u32 s23, s23, s7
	s_add_u32 s12, s12, s20
	s_addc_u32 s13, s13, s21
	s_add_u32 s24, s24, s6
	s_addc_u32 s25, s25, s7
	s_waitcnt vmcnt(0)
	v_mul_f64 v[25:26], v[16:17], v[10:11]
	v_mul_f64 v[27:28], v[16:17], -v[12:13]
	v_fma_f64 v[12:13], v[12:13], v[14:15], v[25:26]
	v_fma_f64 v[25:26], v[10:11], v[14:15], v[27:28]
	v_add_f64 v[27:28], v[20:21], -v[12:13]
	global_load_dwordx4 v[10:13], v[23:24], off
	v_add_f64 v[24:25], v[18:19], -v[25:26]
	v_addc_co_u32_e32 v23, vcc, v29, v4, vcc
	v_mul_f64 v[18:19], v[27:28], v[27:28]
	v_fma_f64 v[29:30], v[24:25], v[24:25], v[18:19]
	global_load_dwordx4 v[18:21], v[22:23], off offset:-8
	v_div_scale_f64 v[22:23], s[0:1], v[29:30], v[29:30], 1.0
	v_rcp_f64_e32 v[31:32], v[22:23]
	v_fma_f64 v[33:34], -v[22:23], v[31:32], 1.0
	v_fma_f64 v[31:32], v[31:32], v[33:34], v[31:32]
	s_waitcnt vmcnt(1)
	v_mul_f64 v[35:36], v[16:17], -v[12:13]
	v_mul_f64 v[16:17], v[16:17], v[10:11]
	v_fma_f64 v[10:11], v[10:11], v[14:15], v[35:36]
	v_fma_f64 v[12:13], v[12:13], v[14:15], v[16:17]
	v_div_scale_f64 v[14:15], vcc, 1.0, v[29:30], 1.0
	v_fma_f64 v[16:17], -v[22:23], v[31:32], 1.0
	s_waitcnt vmcnt(0)
	v_add_f64 v[10:11], v[18:19], -v[10:11]
	v_add_f64 v[12:13], v[20:21], -v[12:13]
	v_mov_b32_e32 v21, s15
	v_fma_f64 v[16:17], v[31:32], v[16:17], v[31:32]
	v_mul_f64 v[18:19], v[27:28], -v[10:11]
	v_mul_f64 v[31:32], v[14:15], v[16:17]
	v_fma_f64 v[14:15], -v[22:23], v[31:32], v[14:15]
	v_div_fmas_f64 v[14:15], v[14:15], v[16:17], v[31:32]
	v_mul_f64 v[16:17], v[12:13], v[27:28]
	v_fma_f64 v[12:13], v[12:13], v[24:25], v[18:19]
	v_add_co_u32_e32 v20, vcc, s14, v3
	s_add_u32 s14, s14, s20
	s_addc_u32 s15, s15, s21
	s_add_u32 s10, s10, s6
	s_addc_u32 s11, s11, s7
	v_fma_f64 v[10:11], v[10:11], v[24:25], v[16:17]
	v_addc_co_u32_e32 v21, vcc, v21, v4, vcc
	s_cmp_eq_u32 s5, 0
	v_div_fixup_f64 v[14:15], v[14:15], v[29:30], 1.0
	v_mul_f64 v[10:11], v[10:11], v[14:15]
	v_mul_f64 v[12:13], v[12:13], v[14:15]
	global_store_dwordx4 v[20:21], v[10:13], off offset:-8
	s_cbranch_scc0 .LBB9_5
; %bb.6:
	s_mul_i32 s0, s17, s22
	s_ashr_i32 s1, s0, 31
	s_lshl_b64 s[0:1], s[0:1], 4
	v_mov_b32_e32 v0, s1
	v_add_co_u32_e32 v3, vcc, s0, v7
	v_addc_co_u32_e32 v4, vcc, v8, v0, vcc
	global_load_dwordx4 v[9:12], v[3:4], off
	s_mul_i32 s0, s18, s22
	s_ashr_i32 s1, s0, 31
	s_lshl_b64 s[6:7], s[0:1], 4
	s_add_i32 s2, s16, -2
	v_mov_b32_e32 v0, s7
	v_add_co_u32_e32 v3, vcc, s6, v1
	s_mul_i32 s4, s18, s2
	s_mul_i32 s2, s17, s2
	v_addc_co_u32_e32 v4, vcc, v2, v0, vcc
	s_mov_b32 s1, 0
	s_waitcnt vmcnt(0)
	global_store_dwordx4 v[3:4], v[9:12], off
.LBB9_7:                                ; =>This Inner Loop Header: Depth=1
	s_ashr_i32 s3, s2, 31
	s_add_i32 s6, s0, s1
	s_lshl_b64 s[8:9], s[2:3], 4
	s_ashr_i32 s7, s6, 31
	v_mov_b32_e32 v0, s9
	v_add_co_u32_e32 v3, vcc, s8, v5
	s_lshl_b64 s[6:7], s[6:7], 4
	v_addc_co_u32_e32 v4, vcc, v6, v0, vcc
	v_mov_b32_e32 v9, s7
	v_add_co_u32_e32 v17, vcc, s6, v1
	v_addc_co_u32_e32 v18, vcc, v2, v9, vcc
	global_load_dwordx4 v[9:12], v[3:4], off
	global_load_dwordx4 v[13:16], v[17:18], off
	v_add_co_u32_e32 v3, vcc, s8, v7
	v_addc_co_u32_e32 v4, vcc, v8, v0, vcc
	global_load_dwordx4 v[17:20], v[3:4], off
	s_add_i32 s6, s4, s1
	s_ashr_i32 s7, s6, 31
	s_lshl_b64 s[6:7], s[6:7], 4
	s_add_i32 s22, s22, -1
	s_sub_i32 s1, s1, s18
	s_sub_i32 s2, s2, s17
	v_mov_b32_e32 v0, s7
	s_cmp_eq_u32 s22, 0
	s_waitcnt vmcnt(1)
	v_mul_f64 v[3:4], v[15:16], -v[11:12]
	v_mul_f64 v[15:16], v[15:16], v[9:10]
	v_fma_f64 v[3:4], v[9:10], v[13:14], v[3:4]
	v_fma_f64 v[11:12], v[11:12], v[13:14], v[15:16]
	s_waitcnt vmcnt(0)
	v_add_f64 v[9:10], v[17:18], -v[3:4]
	v_add_f64 v[11:12], v[19:20], -v[11:12]
	v_add_co_u32_e32 v3, vcc, s6, v1
	v_addc_co_u32_e32 v4, vcc, v2, v0, vcc
	global_store_dwordx4 v[3:4], v[9:12], off
	s_cbranch_scc0 .LBB9_7
.LBB9_8:
	s_endpgm
	.section	.rodata,"a",@progbits
	.p2align	6, 0x0
	.amdhsa_kernel _ZN9rocsparseL36gtsv_interleaved_batch_thomas_kernelILj128E21rocsparse_complex_numIdEEEviiiPKT0_S5_S5_PS3_S6_S6_
		.amdhsa_group_segment_fixed_size 0
		.amdhsa_private_segment_fixed_size 0
		.amdhsa_kernarg_size 64
		.amdhsa_user_sgpr_count 6
		.amdhsa_user_sgpr_private_segment_buffer 1
		.amdhsa_user_sgpr_dispatch_ptr 0
		.amdhsa_user_sgpr_queue_ptr 0
		.amdhsa_user_sgpr_kernarg_segment_ptr 1
		.amdhsa_user_sgpr_dispatch_id 0
		.amdhsa_user_sgpr_flat_scratch_init 0
		.amdhsa_user_sgpr_private_segment_size 0
		.amdhsa_uses_dynamic_stack 0
		.amdhsa_system_sgpr_private_segment_wavefront_offset 0
		.amdhsa_system_sgpr_workgroup_id_x 1
		.amdhsa_system_sgpr_workgroup_id_y 0
		.amdhsa_system_sgpr_workgroup_id_z 0
		.amdhsa_system_sgpr_workgroup_info 0
		.amdhsa_system_vgpr_workitem_id 0
		.amdhsa_next_free_vgpr 37
		.amdhsa_next_free_sgpr 28
		.amdhsa_reserve_vcc 1
		.amdhsa_reserve_flat_scratch 0
		.amdhsa_float_round_mode_32 0
		.amdhsa_float_round_mode_16_64 0
		.amdhsa_float_denorm_mode_32 3
		.amdhsa_float_denorm_mode_16_64 3
		.amdhsa_dx10_clamp 1
		.amdhsa_ieee_mode 1
		.amdhsa_fp16_overflow 0
		.amdhsa_exception_fp_ieee_invalid_op 0
		.amdhsa_exception_fp_denorm_src 0
		.amdhsa_exception_fp_ieee_div_zero 0
		.amdhsa_exception_fp_ieee_overflow 0
		.amdhsa_exception_fp_ieee_underflow 0
		.amdhsa_exception_fp_ieee_inexact 0
		.amdhsa_exception_int_div_zero 0
	.end_amdhsa_kernel
	.section	.text._ZN9rocsparseL36gtsv_interleaved_batch_thomas_kernelILj128E21rocsparse_complex_numIdEEEviiiPKT0_S5_S5_PS3_S6_S6_,"axG",@progbits,_ZN9rocsparseL36gtsv_interleaved_batch_thomas_kernelILj128E21rocsparse_complex_numIdEEEviiiPKT0_S5_S5_PS3_S6_S6_,comdat
.Lfunc_end9:
	.size	_ZN9rocsparseL36gtsv_interleaved_batch_thomas_kernelILj128E21rocsparse_complex_numIdEEEviiiPKT0_S5_S5_PS3_S6_S6_, .Lfunc_end9-_ZN9rocsparseL36gtsv_interleaved_batch_thomas_kernelILj128E21rocsparse_complex_numIdEEEviiiPKT0_S5_S5_PS3_S6_S6_
                                        ; -- End function
	.set _ZN9rocsparseL36gtsv_interleaved_batch_thomas_kernelILj128E21rocsparse_complex_numIdEEEviiiPKT0_S5_S5_PS3_S6_S6_.num_vgpr, 37
	.set _ZN9rocsparseL36gtsv_interleaved_batch_thomas_kernelILj128E21rocsparse_complex_numIdEEEviiiPKT0_S5_S5_PS3_S6_S6_.num_agpr, 0
	.set _ZN9rocsparseL36gtsv_interleaved_batch_thomas_kernelILj128E21rocsparse_complex_numIdEEEviiiPKT0_S5_S5_PS3_S6_S6_.numbered_sgpr, 28
	.set _ZN9rocsparseL36gtsv_interleaved_batch_thomas_kernelILj128E21rocsparse_complex_numIdEEEviiiPKT0_S5_S5_PS3_S6_S6_.num_named_barrier, 0
	.set _ZN9rocsparseL36gtsv_interleaved_batch_thomas_kernelILj128E21rocsparse_complex_numIdEEEviiiPKT0_S5_S5_PS3_S6_S6_.private_seg_size, 0
	.set _ZN9rocsparseL36gtsv_interleaved_batch_thomas_kernelILj128E21rocsparse_complex_numIdEEEviiiPKT0_S5_S5_PS3_S6_S6_.uses_vcc, 1
	.set _ZN9rocsparseL36gtsv_interleaved_batch_thomas_kernelILj128E21rocsparse_complex_numIdEEEviiiPKT0_S5_S5_PS3_S6_S6_.uses_flat_scratch, 0
	.set _ZN9rocsparseL36gtsv_interleaved_batch_thomas_kernelILj128E21rocsparse_complex_numIdEEEviiiPKT0_S5_S5_PS3_S6_S6_.has_dyn_sized_stack, 0
	.set _ZN9rocsparseL36gtsv_interleaved_batch_thomas_kernelILj128E21rocsparse_complex_numIdEEEviiiPKT0_S5_S5_PS3_S6_S6_.has_recursion, 0
	.set _ZN9rocsparseL36gtsv_interleaved_batch_thomas_kernelILj128E21rocsparse_complex_numIdEEEviiiPKT0_S5_S5_PS3_S6_S6_.has_indirect_call, 0
	.section	.AMDGPU.csdata,"",@progbits
; Kernel info:
; codeLenInByte = 1572
; TotalNumSgprs: 32
; NumVgprs: 37
; ScratchSize: 0
; MemoryBound: 0
; FloatMode: 240
; IeeeMode: 1
; LDSByteSize: 0 bytes/workgroup (compile time only)
; SGPRBlocks: 3
; VGPRBlocks: 9
; NumSGPRsForWavesPerEU: 32
; NumVGPRsForWavesPerEU: 37
; Occupancy: 6
; WaveLimiterHint : 0
; COMPUTE_PGM_RSRC2:SCRATCH_EN: 0
; COMPUTE_PGM_RSRC2:USER_SGPR: 6
; COMPUTE_PGM_RSRC2:TRAP_HANDLER: 0
; COMPUTE_PGM_RSRC2:TGID_X_EN: 1
; COMPUTE_PGM_RSRC2:TGID_Y_EN: 0
; COMPUTE_PGM_RSRC2:TGID_Z_EN: 0
; COMPUTE_PGM_RSRC2:TIDIG_COMP_CNT: 0
	.section	.text._ZN9rocsparseL32gtsv_interleaved_batch_lu_kernelILj128E21rocsparse_complex_numIdEEEviiiPT0_S4_S4_S4_PiS4_,"axG",@progbits,_ZN9rocsparseL32gtsv_interleaved_batch_lu_kernelILj128E21rocsparse_complex_numIdEEEviiiPT0_S4_S4_S4_PiS4_,comdat
	.globl	_ZN9rocsparseL32gtsv_interleaved_batch_lu_kernelILj128E21rocsparse_complex_numIdEEEviiiPT0_S4_S4_S4_PiS4_ ; -- Begin function _ZN9rocsparseL32gtsv_interleaved_batch_lu_kernelILj128E21rocsparse_complex_numIdEEEviiiPT0_S4_S4_S4_PiS4_
	.p2align	8
	.type	_ZN9rocsparseL32gtsv_interleaved_batch_lu_kernelILj128E21rocsparse_complex_numIdEEEviiiPT0_S4_S4_S4_PiS4_,@function
_ZN9rocsparseL32gtsv_interleaved_batch_lu_kernelILj128E21rocsparse_complex_numIdEEEviiiPT0_S4_S4_S4_PiS4_: ; @_ZN9rocsparseL32gtsv_interleaved_batch_lu_kernelILj128E21rocsparse_complex_numIdEEEviiiPT0_S4_S4_S4_PiS4_
; %bb.0:
	s_load_dwordx4 s[16:19], s[6:7], 0x0
	s_add_u32 s0, s0, s9
	s_addc_u32 s1, s1, 0
	s_waitcnt lgkmcnt(0)
	s_lshl_b32 s19, s8, 7
	v_or_b32_e32 v9, s19, v0
	v_cmp_gt_i32_e32 vcc, s17, v9
	s_and_saveexec_b64 s[8:9], vcc
	s_cbranch_execz .LBB10_31
; %bb.1:
	s_load_dwordx8 s[8:15], s[6:7], 0x18
	s_load_dwordx2 s[20:21], s[6:7], 0x38
	v_ashrrev_i32_e32 v10, 31, v9
	v_lshlrev_b64 v[3:4], 2, v[9:10]
	s_add_i32 s30, s16, -1
	s_waitcnt lgkmcnt(0)
	v_mov_b32_e32 v5, s15
	v_add_co_u32_e32 v10, vcc, s14, v3
	v_addc_co_u32_e32 v11, vcc, v5, v4, vcc
	v_mov_b32_e32 v3, 0
	s_cmp_lt_i32 s16, 2
	global_store_dword v[10:11], v3, off
	s_cbranch_scc1 .LBB10_28
; %bb.2:
	s_load_dwordx2 s[24:25], s[4:5], 0x4
	s_load_dwordx2 s[22:23], s[6:7], 0x10
	s_mov_b32 s26, 0
	v_mov_b32_e32 v30, s9
	v_mov_b32_e32 v31, 0x260
	s_waitcnt lgkmcnt(0)
	s_lshr_b32 s4, s24, 16
	v_mul_u32_u24_e32 v1, s25, v1
	s_mul_i32 s4, s4, s25
	v_mad_u32_u24 v1, s4, v0, v1
	s_mov_b32 s24, 0
	v_mov_b32_e32 v28, s23
	v_add_lshl_u32 v29, v1, v2, 4
	s_brev_b32 s25, 8
	v_mov_b32_e32 v32, 0x100
	v_mov_b32_e32 v33, 0xffffff80
	s_branch .LBB10_4
.LBB10_3:                               ;   in Loop: Header=BB10_4 Depth=1
	s_or_b64 exec, exec, s[6:7]
	s_cmp_lg_u32 s31, s30
	s_mov_b32 s26, s31
	s_cbranch_scc0 .LBB10_20
.LBB10_4:                               ; =>This Inner Loop Header: Depth=1
	s_mul_i32 s4, s26, s18
	v_add_u32_e32 v1, s4, v9
	v_ashrrev_i32_e32 v2, 31, v1
	v_lshlrev_b64 v[16:17], 4, v[1:2]
	v_add_u32_e32 v1, s18, v1
	v_add_co_u32_e32 v18, vcc, s8, v16
	v_addc_co_u32_e32 v19, vcc, v30, v17, vcc
	global_load_dwordx4 v[5:8], v[18:19], off
	v_ashrrev_i32_e32 v2, 31, v1
	v_lshlrev_b64 v[14:15], 4, v[1:2]
	v_add_co_u32_e32 v12, vcc, s22, v14
	v_addc_co_u32_e32 v13, vcc, v28, v15, vcc
	global_load_dwordx4 v[1:4], v[12:13], off
	s_waitcnt vmcnt(1)
	v_cmp_gt_f64_e32 vcc, 0, v[5:6]
	v_xor_b32_e32 v20, 0x80000000, v6
	v_xor_b32_e32 v21, 0x80000000, v8
	v_mov_b32_e32 v22, v5
	v_mov_b32_e32 v24, v7
	v_cndmask_b32_e32 v23, v6, v20, vcc
	v_cmp_gt_f64_e32 vcc, 0, v[7:8]
	v_cndmask_b32_e32 v25, v8, v21, vcc
	v_cmp_ngt_f64_e32 vcc, v[22:23], v[24:25]
                                        ; implicit-def: $vgpr20_vgpr21
	s_and_saveexec_b64 s[4:5], vcc
	s_xor_b64 s[4:5], exec, s[4:5]
	s_cbranch_execz .LBB10_8
; %bb.5:                                ;   in Loop: Header=BB10_4 Depth=1
	v_cmp_neq_f64_e32 vcc, 0, v[7:8]
	v_mov_b32_e32 v20, 0
	v_mov_b32_e32 v21, 0
	s_and_saveexec_b64 s[6:7], vcc
	s_cbranch_execz .LBB10_7
; %bb.6:                                ;   in Loop: Header=BB10_4 Depth=1
	v_div_scale_f64 v[20:21], s[28:29], v[24:25], v[24:25], v[22:23]
	v_rcp_f64_e32 v[26:27], v[20:21]
	v_fma_f64 v[34:35], -v[20:21], v[26:27], 1.0
	v_fma_f64 v[26:27], v[26:27], v[34:35], v[26:27]
	v_div_scale_f64 v[34:35], vcc, v[22:23], v[24:25], v[22:23]
	v_fma_f64 v[36:37], -v[20:21], v[26:27], 1.0
	v_fma_f64 v[26:27], v[26:27], v[36:37], v[26:27]
	v_mul_f64 v[36:37], v[34:35], v[26:27]
	v_fma_f64 v[20:21], -v[20:21], v[36:37], v[34:35]
	v_div_fmas_f64 v[20:21], v[20:21], v[26:27], v[36:37]
	v_div_fixup_f64 v[20:21], v[20:21], v[24:25], v[22:23]
	v_fma_f64 v[20:21], v[20:21], v[20:21], 1.0
	v_cmp_gt_f64_e32 vcc, s[24:25], v[20:21]
	v_cndmask_b32_e32 v22, 0, v32, vcc
	v_ldexp_f64 v[20:21], v[20:21], v22
	v_rsq_f64_e32 v[22:23], v[20:21]
	v_mul_f64 v[26:27], v[20:21], v[22:23]
	v_mul_f64 v[22:23], v[22:23], 0.5
	v_fma_f64 v[34:35], -v[22:23], v[26:27], 0.5
	v_fma_f64 v[26:27], v[26:27], v[34:35], v[26:27]
	v_fma_f64 v[22:23], v[22:23], v[34:35], v[22:23]
	v_fma_f64 v[34:35], -v[26:27], v[26:27], v[20:21]
	v_fma_f64 v[26:27], v[34:35], v[22:23], v[26:27]
	v_fma_f64 v[34:35], -v[26:27], v[26:27], v[20:21]
	v_fma_f64 v[22:23], v[34:35], v[22:23], v[26:27]
	v_cndmask_b32_e32 v26, 0, v33, vcc
	v_cmp_class_f64_e32 vcc, v[20:21], v31
	v_ldexp_f64 v[22:23], v[22:23], v26
	v_cndmask_b32_e32 v21, v23, v21, vcc
	v_cndmask_b32_e32 v20, v22, v20, vcc
	v_mul_f64 v[20:21], v[24:25], v[20:21]
.LBB10_7:                               ;   in Loop: Header=BB10_4 Depth=1
	s_or_b64 exec, exec, s[6:7]
                                        ; implicit-def: $vgpr22_vgpr23
                                        ; implicit-def: $vgpr24_vgpr25
.LBB10_8:                               ;   in Loop: Header=BB10_4 Depth=1
	s_andn2_saveexec_b64 s[4:5], s[4:5]
	s_cbranch_execz .LBB10_10
; %bb.9:                                ;   in Loop: Header=BB10_4 Depth=1
	v_div_scale_f64 v[20:21], s[6:7], v[22:23], v[22:23], v[24:25]
	v_rcp_f64_e32 v[26:27], v[20:21]
	v_fma_f64 v[34:35], -v[20:21], v[26:27], 1.0
	v_fma_f64 v[26:27], v[26:27], v[34:35], v[26:27]
	v_div_scale_f64 v[34:35], vcc, v[24:25], v[22:23], v[24:25]
	v_fma_f64 v[36:37], -v[20:21], v[26:27], 1.0
	v_fma_f64 v[26:27], v[26:27], v[36:37], v[26:27]
	v_mul_f64 v[36:37], v[34:35], v[26:27]
	v_fma_f64 v[20:21], -v[20:21], v[36:37], v[34:35]
	v_div_fmas_f64 v[20:21], v[20:21], v[26:27], v[36:37]
	v_div_fixup_f64 v[20:21], v[20:21], v[22:23], v[24:25]
	v_fma_f64 v[20:21], v[20:21], v[20:21], 1.0
	v_cmp_gt_f64_e32 vcc, s[24:25], v[20:21]
	v_cndmask_b32_e32 v24, 0, v32, vcc
	v_ldexp_f64 v[20:21], v[20:21], v24
	v_rsq_f64_e32 v[24:25], v[20:21]
	v_mul_f64 v[26:27], v[20:21], v[24:25]
	v_mul_f64 v[24:25], v[24:25], 0.5
	v_fma_f64 v[34:35], -v[24:25], v[26:27], 0.5
	v_fma_f64 v[26:27], v[26:27], v[34:35], v[26:27]
	v_fma_f64 v[24:25], v[24:25], v[34:35], v[24:25]
	v_fma_f64 v[34:35], -v[26:27], v[26:27], v[20:21]
	v_fma_f64 v[26:27], v[34:35], v[24:25], v[26:27]
	v_fma_f64 v[34:35], -v[26:27], v[26:27], v[20:21]
	v_fma_f64 v[24:25], v[34:35], v[24:25], v[26:27]
	v_cndmask_b32_e32 v26, 0, v33, vcc
	v_cmp_class_f64_e32 vcc, v[20:21], v31
	v_ldexp_f64 v[24:25], v[24:25], v26
	v_cndmask_b32_e32 v21, v25, v21, vcc
	v_cndmask_b32_e32 v20, v24, v20, vcc
	v_mul_f64 v[20:21], v[22:23], v[20:21]
.LBB10_10:                              ;   in Loop: Header=BB10_4 Depth=1
	s_or_b64 exec, exec, s[4:5]
	s_waitcnt vmcnt(0)
	v_cmp_gt_f64_e32 vcc, 0, v[1:2]
	v_xor_b32_e32 v22, 0x80000000, v2
	v_xor_b32_e32 v24, 0x80000000, v4
                                        ; implicit-def: $vgpr26_vgpr27
	v_cndmask_b32_e32 v23, v2, v22, vcc
	v_cmp_gt_f64_e32 vcc, 0, v[3:4]
	v_mov_b32_e32 v22, v1
	v_cndmask_b32_e32 v25, v4, v24, vcc
	v_mov_b32_e32 v24, v3
	v_cmp_ngt_f64_e32 vcc, v[22:23], v[24:25]
	s_and_saveexec_b64 s[4:5], vcc
	s_xor_b64 s[4:5], exec, s[4:5]
	s_cbranch_execz .LBB10_14
; %bb.11:                               ;   in Loop: Header=BB10_4 Depth=1
	v_cmp_neq_f64_e32 vcc, 0, v[3:4]
	v_mov_b32_e32 v26, 0
	v_mov_b32_e32 v27, 0
	s_and_saveexec_b64 s[6:7], vcc
	s_cbranch_execz .LBB10_13
; %bb.12:                               ;   in Loop: Header=BB10_4 Depth=1
	v_div_scale_f64 v[26:27], s[28:29], v[24:25], v[24:25], v[22:23]
	v_rcp_f64_e32 v[34:35], v[26:27]
	v_fma_f64 v[36:37], -v[26:27], v[34:35], 1.0
	v_fma_f64 v[34:35], v[34:35], v[36:37], v[34:35]
	v_div_scale_f64 v[36:37], vcc, v[22:23], v[24:25], v[22:23]
	v_fma_f64 v[38:39], -v[26:27], v[34:35], 1.0
	v_fma_f64 v[34:35], v[34:35], v[38:39], v[34:35]
	v_mul_f64 v[38:39], v[36:37], v[34:35]
	v_fma_f64 v[26:27], -v[26:27], v[38:39], v[36:37]
	v_div_fmas_f64 v[26:27], v[26:27], v[34:35], v[38:39]
	v_div_fixup_f64 v[22:23], v[26:27], v[24:25], v[22:23]
	v_fma_f64 v[22:23], v[22:23], v[22:23], 1.0
	v_cmp_gt_f64_e32 vcc, s[24:25], v[22:23]
	v_cndmask_b32_e32 v26, 0, v32, vcc
	v_ldexp_f64 v[22:23], v[22:23], v26
	v_rsq_f64_e32 v[26:27], v[22:23]
	v_mul_f64 v[34:35], v[22:23], v[26:27]
	v_mul_f64 v[26:27], v[26:27], 0.5
	v_fma_f64 v[36:37], -v[26:27], v[34:35], 0.5
	v_fma_f64 v[34:35], v[34:35], v[36:37], v[34:35]
	v_fma_f64 v[26:27], v[26:27], v[36:37], v[26:27]
	v_fma_f64 v[36:37], -v[34:35], v[34:35], v[22:23]
	v_fma_f64 v[34:35], v[36:37], v[26:27], v[34:35]
	v_fma_f64 v[36:37], -v[34:35], v[34:35], v[22:23]
	v_fma_f64 v[26:27], v[36:37], v[26:27], v[34:35]
	v_cndmask_b32_e32 v34, 0, v33, vcc
	v_cmp_class_f64_e32 vcc, v[22:23], v31
	v_ldexp_f64 v[26:27], v[26:27], v34
	v_cndmask_b32_e32 v23, v27, v23, vcc
	v_cndmask_b32_e32 v22, v26, v22, vcc
	v_mul_f64 v[26:27], v[24:25], v[22:23]
.LBB10_13:                              ;   in Loop: Header=BB10_4 Depth=1
	s_or_b64 exec, exec, s[6:7]
                                        ; implicit-def: $vgpr22_vgpr23
                                        ; implicit-def: $vgpr24_vgpr25
.LBB10_14:                              ;   in Loop: Header=BB10_4 Depth=1
	s_andn2_saveexec_b64 s[4:5], s[4:5]
	s_cbranch_execz .LBB10_16
; %bb.15:                               ;   in Loop: Header=BB10_4 Depth=1
	v_div_scale_f64 v[26:27], s[6:7], v[22:23], v[22:23], v[24:25]
	v_rcp_f64_e32 v[34:35], v[26:27]
	v_fma_f64 v[36:37], -v[26:27], v[34:35], 1.0
	v_fma_f64 v[34:35], v[34:35], v[36:37], v[34:35]
	v_div_scale_f64 v[36:37], vcc, v[24:25], v[22:23], v[24:25]
	v_fma_f64 v[38:39], -v[26:27], v[34:35], 1.0
	v_fma_f64 v[34:35], v[34:35], v[38:39], v[34:35]
	v_mul_f64 v[38:39], v[36:37], v[34:35]
	v_fma_f64 v[26:27], -v[26:27], v[38:39], v[36:37]
	v_div_fmas_f64 v[26:27], v[26:27], v[34:35], v[38:39]
	v_div_fixup_f64 v[24:25], v[26:27], v[22:23], v[24:25]
	v_fma_f64 v[24:25], v[24:25], v[24:25], 1.0
	v_cmp_gt_f64_e32 vcc, s[24:25], v[24:25]
	v_cndmask_b32_e32 v26, 0, v32, vcc
	v_ldexp_f64 v[24:25], v[24:25], v26
	v_rsq_f64_e32 v[26:27], v[24:25]
	v_mul_f64 v[34:35], v[24:25], v[26:27]
	v_mul_f64 v[26:27], v[26:27], 0.5
	v_fma_f64 v[36:37], -v[26:27], v[34:35], 0.5
	v_fma_f64 v[34:35], v[34:35], v[36:37], v[34:35]
	v_fma_f64 v[26:27], v[26:27], v[36:37], v[26:27]
	v_fma_f64 v[36:37], -v[34:35], v[34:35], v[24:25]
	v_fma_f64 v[34:35], v[36:37], v[26:27], v[34:35]
	v_fma_f64 v[36:37], -v[34:35], v[34:35], v[24:25]
	v_fma_f64 v[26:27], v[36:37], v[26:27], v[34:35]
	v_cndmask_b32_e32 v34, 0, v33, vcc
	v_cmp_class_f64_e32 vcc, v[24:25], v31
	v_ldexp_f64 v[26:27], v[26:27], v34
	v_cndmask_b32_e32 v25, v27, v25, vcc
	v_cndmask_b32_e32 v24, v26, v24, vcc
	v_mul_f64 v[26:27], v[22:23], v[24:25]
.LBB10_16:                              ;   in Loop: Header=BB10_4 Depth=1
	s_or_b64 exec, exec, s[4:5]
	v_cmp_nlt_f64_e32 vcc, v[20:21], v[26:27]
	v_mul_f64 v[22:23], v[3:4], v[7:8]
	s_add_i32 s31, s26, 1
	s_mul_i32 s26, s26, s17
	v_add_u32_e32 v20, s26, v9
	s_and_saveexec_b64 s[4:5], vcc
	s_xor_b64 s[28:29], exec, s[4:5]
	s_cbranch_execnz .LBB10_18
; %bb.17:                               ;   in Loop: Header=BB10_4 Depth=1
	s_andn2_saveexec_b64 s[6:7], s[28:29]
	s_cbranch_execz .LBB10_3
	s_branch .LBB10_19
.LBB10_18:                              ;   in Loop: Header=BB10_4 Depth=1
	v_mul_f64 v[18:19], v[7:8], v[7:8]
	v_ashrrev_i32_e32 v21, 31, v20
	v_mov_b32_e32 v40, s11
	v_add_co_u32_e32 v16, vcc, s10, v16
	v_lshlrev_b64 v[20:21], 4, v[20:21]
	v_addc_co_u32_e32 v17, vcc, v40, v17, vcc
	v_fma_f64 v[34:35], v[5:6], v[5:6], v[18:19]
	v_mov_b32_e32 v41, s13
	v_add_co_u32_e32 v20, vcc, s12, v20
	v_addc_co_u32_e32 v21, vcc, v41, v21, vcc
	v_mul_f64 v[7:8], v[7:8], -v[1:2]
	v_mov_b32_e32 v43, s9
	v_div_scale_f64 v[36:37], s[4:5], v[34:35], v[34:35], 1.0
	v_add_co_u32_e32 v42, vcc, s8, v14
	v_mov_b32_e32 v46, s11
	v_add_co_u32_e64 v14, s[6:7], s10, v14
	v_addc_co_u32_e32 v43, vcc, v43, v15, vcc
	v_div_scale_f64 v[38:39], s[4:5], 1.0, v[34:35], 1.0
	v_addc_co_u32_e64 v15, vcc, v46, v15, s[6:7]
	s_mov_b64 vcc, s[4:5]
	s_mul_i32 s4, s31, s17
	s_ashr_i32 s5, s4, 31
	v_rcp_f64_e32 v[18:19], v[36:37]
	s_lshl_b64 s[4:5], s[4:5], 2
	v_fma_f64 v[24:25], -v[36:37], v[18:19], 1.0
	v_fma_f64 v[24:25], v[18:19], v[24:25], v[18:19]
	global_load_dwordx4 v[16:19], v[16:17], off
	v_fma_f64 v[26:27], -v[36:37], v[24:25], 1.0
	v_fma_f64 v[40:41], v[24:25], v[26:27], v[24:25]
	global_load_dwordx4 v[24:27], v[20:21], off
	v_fma_f64 v[20:21], v[1:2], v[5:6], v[22:23]
	v_fma_f64 v[22:23], v[3:4], v[5:6], v[7:8]
	global_load_dwordx4 v[1:4], v[42:43], off
	global_load_dwordx4 v[5:8], v[14:15], off
	v_mul_f64 v[44:45], v[38:39], v[40:41]
	v_fma_f64 v[36:37], -v[36:37], v[44:45], v[38:39]
	v_div_fmas_f64 v[36:37], v[36:37], v[40:41], v[44:45]
	v_div_fixup_f64 v[34:35], v[36:37], v[34:35], 1.0
	v_mul_f64 v[22:23], v[22:23], v[34:35]
	v_mul_f64 v[20:21], v[20:21], v[34:35]
	s_waitcnt vmcnt(3)
	v_mul_f64 v[34:35], v[18:19], -v[22:23]
	v_mul_f64 v[18:19], v[20:21], v[18:19]
	v_fma_f64 v[34:35], v[20:21], v[16:17], v[34:35]
	v_fma_f64 v[16:17], v[22:23], v[16:17], v[18:19]
	s_waitcnt vmcnt(2)
	v_mul_f64 v[36:37], v[26:27], -v[22:23]
	v_mul_f64 v[26:27], v[20:21], v[26:27]
	s_waitcnt vmcnt(1)
	v_add_f64 v[1:2], v[1:2], -v[34:35]
	v_add_f64 v[3:4], v[3:4], -v[16:17]
	v_add_co_u32_e32 v16, vcc, s4, v10
	v_fma_f64 v[18:19], v[20:21], v[24:25], v[36:37]
	v_fma_f64 v[24:25], v[22:23], v[24:25], v[26:27]
	v_mov_b32_e32 v27, s5
	v_mov_b32_e32 v26, s31
	v_addc_co_u32_e32 v17, vcc, v11, v27, vcc
	s_waitcnt vmcnt(0)
	v_add_f64 v[5:6], v[5:6], -v[18:19]
	v_add_f64 v[7:8], v[7:8], -v[24:25]
                                        ; implicit-def: $vgpr18_vgpr19
	global_store_dword v[16:17], v26, off
	global_store_dwordx4 v[12:13], v[20:23], off
	global_store_dwordx4 v[42:43], v[1:4], off
	;; [unrolled: 1-line block ×3, first 2 shown]
                                        ; implicit-def: $vgpr12_vgpr13
                                        ; implicit-def: $vgpr14_vgpr15
                                        ; implicit-def: $vgpr16_vgpr17
                                        ; implicit-def: $vgpr3_vgpr4
                                        ; implicit-def: $vgpr7_vgpr8
                                        ; implicit-def: $vgpr22_vgpr23
                                        ; implicit-def: $vgpr20
	s_andn2_saveexec_b64 s[6:7], s[28:29]
	s_cbranch_execz .LBB10_3
.LBB10_19:                              ;   in Loop: Header=BB10_4 Depth=1
	v_mov_b32_e32 v21, s21
	v_add_co_u32_e32 v34, vcc, s20, v14
	v_addc_co_u32_e32 v35, vcc, v21, v15, vcc
	global_load_dwordx4 v[24:27], v[34:35], off
	v_mul_f64 v[36:37], v[3:4], -v[5:6]
	v_mul_f64 v[40:41], v[3:4], v[3:4]
	v_mov_b32_e32 v21, s9
	v_add_co_u32_e32 v42, vcc, s8, v14
	v_mov_b32_e32 v39, s21
	v_add_co_u32_e64 v38, s[4:5], s20, v16
	v_addc_co_u32_e32 v43, vcc, v21, v15, vcc
	v_addc_co_u32_e64 v39, vcc, v39, v17, s[4:5]
	v_fma_f64 v[44:45], v[5:6], v[1:2], v[22:23]
	v_fma_f64 v[36:37], v[7:8], v[1:2], v[36:37]
	global_load_dwordx4 v[5:8], v[42:43], off
	v_mov_b32_e32 v21, s11
	global_store_dwordx4 v[18:19], v[1:4], off
	v_fma_f64 v[18:19], v[1:2], v[1:2], v[40:41]
	global_load_dwordx4 v[1:4], v[38:39], off
	s_ashr_i32 s27, s26, 31
	v_div_scale_f64 v[22:23], s[4:5], v[18:19], v[18:19], 1.0
	s_lshl_b64 s[4:5], s[26:27], 2
	s_waitcnt vmcnt(3)
	global_store_dwordx4 v[38:39], v[24:27], off
	s_nop 0
	v_rcp_f64_e32 v[24:25], v[22:23]
	v_add_co_u32_e32 v26, vcc, s10, v14
	v_addc_co_u32_e32 v27, vcc, v21, v15, vcc
	v_mov_b32_e32 v14, s11
	v_add_co_u32_e32 v38, vcc, s10, v16
	v_addc_co_u32_e32 v39, vcc, v14, v17, vcc
	v_ashrrev_i32_e32 v21, 31, v20
	v_mov_b32_e32 v16, s13
	s_waitcnt vmcnt(3)
	ds_write2_b64 v29, v[5:6], v[7:8] offset1:1
	global_load_dwordx4 v[5:8], v[26:27], off
	v_fma_f64 v[14:15], -v[22:23], v[24:25], 1.0
	s_waitcnt vmcnt(2)
	global_store_dwordx4 v[34:35], v[1:4], off
	ds_read2_b64 v[1:4], v29 offset1:1
	v_fma_f64 v[24:25], v[24:25], v[14:15], v[24:25]
	v_lshlrev_b64 v[14:15], 4, v[20:21]
	v_add_co_u32_e32 v40, vcc, s12, v14
	v_addc_co_u32_e32 v41, vcc, v16, v15, vcc
	global_load_dwordx4 v[14:17], v[38:39], off
	s_waitcnt lgkmcnt(0)
	global_store_dwordx4 v[38:39], v[1:4], off
	s_waitcnt vmcnt(1)
	global_store_dwordx4 v[42:43], v[14:17], off
	v_div_scale_f64 v[1:2], vcc, 1.0, v[18:19], 1.0
	v_fma_f64 v[3:4], -v[22:23], v[24:25], 1.0
	v_fma_f64 v[3:4], v[24:25], v[3:4], v[24:25]
	v_mul_f64 v[24:25], v[1:2], v[3:4]
	v_fma_f64 v[1:2], -v[22:23], v[24:25], v[1:2]
	v_div_fmas_f64 v[34:35], v[1:2], v[3:4], v[24:25]
	global_load_dwordx4 v[1:4], v[40:41], off
	v_mov_b32_e32 v25, s31
	global_store_dwordx4 v[40:41], v[5:8], off
	v_div_fixup_f64 v[18:19], v[34:35], v[18:19], 1.0
	v_mul_f64 v[36:37], v[18:19], v[36:37]
	v_mul_f64 v[34:35], v[18:19], v[44:45]
	s_waitcnt vmcnt(1)
	global_store_dwordx4 v[26:27], v[1:4], off
	global_load_dwordx4 v[21:24], v[38:39], off
	s_waitcnt vmcnt(0)
	v_mul_f64 v[18:19], v[23:24], -v[36:37]
	v_mul_f64 v[23:24], v[34:35], v[23:24]
	v_fma_f64 v[18:19], v[34:35], v[21:22], v[18:19]
	v_fma_f64 v[38:39], v[36:37], v[21:22], v[23:24]
	global_load_dwordx4 v[21:24], v[42:43], off
	s_waitcnt vmcnt(0)
	v_add_f64 v[23:24], v[23:24], -v[38:39]
	global_load_dwordx4 v[38:41], v[40:41], off
	v_add_f64 v[21:22], v[21:22], -v[18:19]
	v_add_u32_e32 v18, s17, v20
	v_mov_b32_e32 v20, s5
	v_add_co_u32_e32 v19, vcc, s4, v10
	v_addc_co_u32_e32 v20, vcc, v11, v20, vcc
	global_load_dword v44, v[19:20], off
	s_nop 0
	global_store_dword v[19:20], v25, off
	buffer_store_dword v8, off, s[0:3], 0 offset:28
	buffer_store_dword v7, off, s[0:3], 0 offset:24
	;; [unrolled: 1-line block ×4, first 2 shown]
	v_ashrrev_i32_e32 v19, 31, v18
	v_lshlrev_b64 v[18:19], 2, v[18:19]
	v_mov_b32_e32 v20, s15
	v_add_co_u32_e32 v18, vcc, s14, v18
	v_addc_co_u32_e32 v19, vcc, v20, v19, vcc
	s_waitcnt vmcnt(6)
	v_mul_f64 v[5:6], v[40:41], -v[36:37]
	v_mul_f64 v[7:8], v[34:35], v[40:41]
	v_fma_f64 v[40:41], v[34:35], v[38:39], v[5:6]
	v_fma_f64 v[38:39], v[36:37], v[38:39], v[7:8]
	global_load_dwordx4 v[5:8], v[26:27], off
	s_nop 0
	buffer_store_dword v17, off, s[0:3], 0 offset:12
	buffer_store_dword v16, off, s[0:3], 0 offset:8
	;; [unrolled: 1-line block ×3, first 2 shown]
	buffer_store_dword v14, off, s[0:3], 0
	s_waitcnt vmcnt(10)
	global_store_dword v[18:19], v44, off
	buffer_store_dword v4, off, s[0:3], 0 offset:44
	buffer_store_dword v3, off, s[0:3], 0 offset:40
	buffer_store_dword v2, off, s[0:3], 0 offset:36
	buffer_store_dword v1, off, s[0:3], 0 offset:32
	s_waitcnt vmcnt(9)
	v_add_f64 v[5:6], v[5:6], -v[40:41]
	v_add_f64 v[7:8], v[7:8], -v[38:39]
	global_store_dwordx4 v[12:13], v[34:37], off
	global_store_dwordx4 v[42:43], v[21:24], off
	;; [unrolled: 1-line block ×3, first 2 shown]
	s_branch .LBB10_3
.LBB10_20:
	s_mov_b32 s24, 1
	v_mov_b32_e32 v5, 0
	s_branch .LBB10_23
.LBB10_21:                              ;   in Loop: Header=BB10_23 Depth=1
	s_or_b64 exec, exec, s[6:7]
	s_mul_i32 s6, s24, s18
	v_add_u32_e32 v5, s6, v9
	v_ashrrev_i32_e32 v6, 31, v5
	v_lshlrev_b64 v[5:6], 4, v[5:6]
	v_mov_b32_e32 v7, s21
	v_add_co_u32_e32 v12, vcc, s20, v5
	v_addc_co_u32_e32 v13, vcc, v7, v6, vcc
	global_load_dwordx4 v[5:8], v[12:13], off
	s_waitcnt vmcnt(0)
	v_add_f64 v[3:4], v[3:4], v[5:6]
	v_add_f64 v[5:6], v[1:2], v[7:8]
	global_store_dwordx4 v[12:13], v[3:6], off
	s_nop 0
	v_mov_b32_e32 v5, s24
.LBB10_22:                              ;   in Loop: Header=BB10_23 Depth=1
	s_or_b64 exec, exec, s[4:5]
	s_add_i32 s24, s24, 1
	s_cmp_eq_u32 s24, s16
	s_cbranch_scc1 .LBB10_28
.LBB10_23:                              ; =>This Loop Header: Depth=1
                                        ;     Child Loop BB10_26 Depth 2
	s_mul_i32 s4, s24, s17
	s_ashr_i32 s5, s4, 31
	s_lshl_b64 s[4:5], s[4:5], 2
	v_mov_b32_e32 v2, s5
	v_add_co_u32_e32 v1, vcc, s4, v10
	v_addc_co_u32_e32 v2, vcc, v11, v2, vcc
	global_load_dword v1, v[1:2], off
	s_waitcnt vmcnt(0)
	v_cmp_ge_i32_e32 vcc, s24, v1
	s_and_saveexec_b64 s[4:5], vcc
	s_cbranch_execz .LBB10_22
; %bb.24:                               ;   in Loop: Header=BB10_23 Depth=1
	v_mov_b32_e32 v1, 0
	v_mov_b32_e32 v3, 0
	;; [unrolled: 1-line block ×4, first 2 shown]
	v_cmp_gt_u32_e32 vcc, s24, v5
	s_and_saveexec_b64 s[6:7], vcc
	s_cbranch_execz .LBB10_21
; %bb.25:                               ;   in Loop: Header=BB10_23 Depth=1
	v_mul_lo_u32 v6, s18, v5
	v_mov_b32_e32 v1, 0
	v_mov_b32_e32 v3, 0
	;; [unrolled: 1-line block ×3, first 2 shown]
	s_mov_b64 s[14:15], 0
	v_mov_b32_e32 v4, 0
	v_add_u32_e32 v7, s18, v6
	v_mov_b32_e32 v8, v9
.LBB10_26:                              ;   Parent Loop BB10_23 Depth=1
                                        ; =>  This Inner Loop Header: Depth=2
	v_add_u32_e32 v12, v7, v8
	v_ashrrev_i32_e32 v13, 31, v12
	v_add_u32_e32 v14, v6, v8
	v_lshlrev_b64 v[12:13], 4, v[12:13]
	v_ashrrev_i32_e32 v15, 31, v14
	v_mov_b32_e32 v16, s23
	v_lshlrev_b64 v[14:15], 4, v[14:15]
	v_add_co_u32_e32 v20, vcc, s22, v12
	v_addc_co_u32_e32 v21, vcc, v16, v13, vcc
	v_mov_b32_e32 v17, s21
	v_add_co_u32_e32 v22, vcc, s20, v14
	v_addc_co_u32_e32 v23, vcc, v17, v15, vcc
	global_load_dwordx4 v[12:15], v[22:23], off
	global_load_dwordx4 v[16:19], v[20:21], off
	v_add_u32_e32 v5, 1, v5
	v_cmp_le_u32_e32 vcc, s24, v5
	s_or_b64 s[14:15], vcc, s[14:15]
	v_add_u32_e32 v8, s18, v8
	s_waitcnt vmcnt(0)
	v_mul_f64 v[20:21], v[14:15], -v[18:19]
	v_mul_f64 v[14:15], v[14:15], v[16:17]
	v_fma_f64 v[16:17], v[16:17], v[12:13], v[20:21]
	v_fma_f64 v[12:13], v[18:19], v[12:13], v[14:15]
	v_add_f64 v[3:4], v[3:4], -v[16:17]
	v_add_f64 v[1:2], v[1:2], -v[12:13]
	s_andn2_b64 exec, exec, s[14:15]
	s_cbranch_execnz .LBB10_26
; %bb.27:                               ;   in Loop: Header=BB10_23 Depth=1
	s_or_b64 exec, exec, s[14:15]
	s_branch .LBB10_21
.LBB10_28:
	s_mul_i32 s4, s18, s30
	v_add_u32_e32 v1, s4, v9
	v_ashrrev_i32_e32 v2, 31, v1
	v_lshlrev_b64 v[5:6], 4, v[1:2]
	v_mov_b32_e32 v2, s9
	v_add_co_u32_e32 v1, vcc, s8, v5
	v_addc_co_u32_e32 v2, vcc, v2, v6, vcc
	global_load_dwordx4 v[1:4], v[1:2], off
	v_add_co_u32_e32 v18, vcc, s20, v5
	s_sub_i32 s5, s4, s18
	v_add_u32_e32 v10, s5, v9
	v_ashrrev_i32_e32 v11, 31, v10
	v_lshlrev_b64 v[20:21], 4, v[10:11]
	v_mov_b32_e32 v12, s9
	s_cmp_lt_i32 s16, 3
	s_waitcnt vmcnt(0)
	v_mul_f64 v[7:8], v[3:4], v[3:4]
	v_fma_f64 v[14:15], v[1:2], v[1:2], v[7:8]
	v_mov_b32_e32 v7, s21
	v_addc_co_u32_e32 v19, vcc, v7, v6, vcc
	global_load_dwordx4 v[5:8], v[18:19], off
	v_add_co_u32_e32 v10, vcc, s8, v20
	v_addc_co_u32_e32 v11, vcc, v12, v21, vcc
	v_div_scale_f64 v[16:17], s[6:7], v[14:15], v[14:15], 1.0
	global_load_dwordx4 v[10:13], v[10:11], off
	v_rcp_f64_e32 v[22:23], v[16:17]
	v_fma_f64 v[24:25], -v[16:17], v[22:23], 1.0
	v_fma_f64 v[22:23], v[22:23], v[24:25], v[22:23]
	v_div_scale_f64 v[24:25], vcc, 1.0, v[14:15], 1.0
	v_fma_f64 v[26:27], -v[16:17], v[22:23], 1.0
	v_fma_f64 v[22:23], v[22:23], v[26:27], v[22:23]
	v_mul_f64 v[26:27], v[24:25], v[22:23]
	v_fma_f64 v[16:17], -v[16:17], v[26:27], v[24:25]
	v_mov_b32_e32 v25, s11
	v_div_fmas_f64 v[16:17], v[16:17], v[22:23], v[26:27]
	s_waitcnt vmcnt(1)
	v_mul_f64 v[22:23], v[3:4], v[7:8]
	v_mul_f64 v[3:4], v[3:4], -v[5:6]
	v_add_co_u32_e32 v24, vcc, s10, v20
	v_addc_co_u32_e32 v25, vcc, v25, v21, vcc
	s_waitcnt vmcnt(0)
	v_mul_f64 v[26:27], v[12:13], v[12:13]
	v_add_co_u32_e32 v20, vcc, s20, v20
	v_fma_f64 v[5:6], v[5:6], v[1:2], v[22:23]
	v_fma_f64 v[7:8], v[7:8], v[1:2], v[3:4]
	global_load_dwordx4 v[1:4], v[24:25], off
	v_fma_f64 v[22:23], v[10:11], v[10:11], v[26:27]
	v_div_fixup_f64 v[14:15], v[16:17], v[14:15], 1.0
	v_div_scale_f64 v[24:25], s[6:7], v[22:23], v[22:23], 1.0
	v_mul_f64 v[5:6], v[14:15], v[5:6]
	v_mul_f64 v[7:8], v[14:15], v[7:8]
	v_mov_b32_e32 v14, s21
	v_addc_co_u32_e32 v21, vcc, v14, v21, vcc
	global_store_dwordx4 v[18:19], v[5:8], off
	global_load_dwordx4 v[14:17], v[20:21], off
	v_rcp_f64_e32 v[18:19], v[24:25]
	v_fma_f64 v[26:27], -v[24:25], v[18:19], 1.0
	v_fma_f64 v[18:19], v[18:19], v[26:27], v[18:19]
	v_div_scale_f64 v[26:27], vcc, 1.0, v[22:23], 1.0
	v_fma_f64 v[28:29], -v[24:25], v[18:19], 1.0
	v_fma_f64 v[18:19], v[18:19], v[28:29], v[18:19]
	v_mul_f64 v[28:29], v[26:27], v[18:19]
	s_waitcnt vmcnt(2)
	v_mul_f64 v[30:31], v[7:8], v[1:2]
	v_mul_f64 v[7:8], v[7:8], -v[3:4]
	v_fma_f64 v[24:25], -v[24:25], v[28:29], v[26:27]
	v_fma_f64 v[3:4], v[3:4], v[5:6], v[30:31]
	v_fma_f64 v[1:2], v[1:2], v[5:6], v[7:8]
	v_div_fmas_f64 v[5:6], v[24:25], v[18:19], v[28:29]
	s_waitcnt vmcnt(0)
	v_add_f64 v[3:4], v[16:17], -v[3:4]
	v_add_f64 v[1:2], v[14:15], -v[1:2]
	v_div_fixup_f64 v[5:6], v[5:6], v[22:23], 1.0
	v_mul_f64 v[7:8], v[3:4], v[12:13]
	v_mul_f64 v[12:13], v[12:13], -v[1:2]
	v_fma_f64 v[1:2], v[1:2], v[10:11], v[7:8]
	v_fma_f64 v[3:4], v[3:4], v[10:11], v[12:13]
	v_mul_f64 v[1:2], v[1:2], v[5:6]
	v_mul_f64 v[3:4], v[3:4], v[5:6]
	global_store_dwordx4 v[20:21], v[1:4], off
	s_cbranch_scc1 .LBB10_31
; %bb.29:
	s_add_i32 s7, s16, -3
	s_mul_i32 s6, s17, s7
	s_add_i32 s5, s16, -2
	s_add_i32 s19, s19, s6
	v_add_u32_e32 v0, s19, v0
	s_mul_i32 s6, s18, s5
	s_mul_i32 s7, s18, s7
.LBB10_30:                              ; =>This Inner Loop Header: Depth=1
	v_add_u32_e32 v1, s7, v9
	v_ashrrev_i32_e32 v2, 31, v1
	v_lshlrev_b64 v[6:7], 4, v[1:2]
	v_mov_b32_e32 v3, s9
	v_add_co_u32_e32 v1, vcc, s8, v6
	v_addc_co_u32_e32 v2, vcc, v3, v7, vcc
	global_load_dwordx4 v[2:5], v[1:2], off
	v_ashrrev_i32_e32 v1, 31, v0
	v_lshlrev_b64 v[14:15], 4, v[0:1]
	v_add_u32_e32 v10, s6, v9
	v_mov_b32_e32 v17, s13
	v_add_co_u32_e32 v26, vcc, s12, v14
	v_ashrrev_i32_e32 v11, 31, v10
	v_addc_co_u32_e32 v27, vcc, v17, v15, vcc
	v_add_u32_e32 v12, s4, v9
	v_mov_b32_e32 v16, s11
	v_lshlrev_b64 v[10:11], 4, v[10:11]
	v_add_co_u32_e32 v28, vcc, s10, v6
	v_ashrrev_i32_e32 v13, 31, v12
	v_addc_co_u32_e32 v29, vcc, v16, v7, vcc
	v_mov_b32_e32 v8, s21
	v_lshlrev_b64 v[12:13], 4, v[12:13]
	v_add_co_u32_e32 v30, vcc, s20, v10
	v_addc_co_u32_e32 v31, vcc, v8, v11, vcc
	v_add_co_u32_e32 v32, vcc, s20, v12
	v_addc_co_u32_e32 v33, vcc, v8, v13, vcc
	global_load_dwordx4 v[10:13], v[30:31], off
	global_load_dwordx4 v[14:17], v[28:29], off
	;; [unrolled: 1-line block ×4, first 2 shown]
	v_add_co_u32_e32 v6, vcc, s20, v6
	v_addc_co_u32_e32 v7, vcc, v8, v7, vcc
	global_load_dwordx4 v[26:29], v[6:7], off
	s_add_i32 s5, s5, -1
	v_subrev_u32_e32 v9, s18, v9
	v_subrev_u32_e32 v0, s17, v0
	s_cmp_lg_u32 s5, 0
	s_waitcnt vmcnt(5)
	v_mul_f64 v[30:31], v[4:5], v[4:5]
	v_fma_f64 v[30:31], v[2:3], v[2:3], v[30:31]
	v_div_scale_f64 v[32:33], s[14:15], v[30:31], v[30:31], 1.0
	s_waitcnt vmcnt(3)
	v_mul_f64 v[40:41], v[12:13], -v[16:17]
	v_mul_f64 v[12:13], v[12:13], v[14:15]
	v_rcp_f64_e32 v[34:35], v[32:33]
	v_fma_f64 v[14:15], v[14:15], v[10:11], v[40:41]
	v_fma_f64 v[10:11], v[16:17], v[10:11], v[12:13]
	s_waitcnt vmcnt(0)
	v_add_f64 v[14:15], v[26:27], -v[14:15]
	v_add_f64 v[10:11], v[28:29], -v[10:11]
	v_fma_f64 v[36:37], -v[32:33], v[34:35], 1.0
	v_fma_f64 v[34:35], v[34:35], v[36:37], v[34:35]
	v_div_scale_f64 v[36:37], vcc, 1.0, v[30:31], 1.0
	v_fma_f64 v[38:39], -v[32:33], v[34:35], 1.0
	v_fma_f64 v[34:35], v[34:35], v[38:39], v[34:35]
	v_mul_f64 v[38:39], v[24:25], -v[20:21]
	v_mul_f64 v[24:25], v[24:25], v[18:19]
	v_mul_f64 v[12:13], v[36:37], v[34:35]
	v_fma_f64 v[16:17], v[18:19], v[22:23], v[38:39]
	v_fma_f64 v[18:19], v[20:21], v[22:23], v[24:25]
	v_fma_f64 v[20:21], -v[32:33], v[12:13], v[36:37]
	v_add_f64 v[14:15], v[14:15], -v[16:17]
	v_add_f64 v[10:11], v[10:11], -v[18:19]
	v_div_fmas_f64 v[12:13], v[20:21], v[34:35], v[12:13]
	v_mul_f64 v[16:17], v[4:5], v[10:11]
	v_mul_f64 v[4:5], v[4:5], -v[14:15]
	v_fma_f64 v[14:15], v[14:15], v[2:3], v[16:17]
	v_fma_f64 v[3:4], v[10:11], v[2:3], v[4:5]
	v_div_fixup_f64 v[10:11], v[12:13], v[30:31], 1.0
	v_mul_f64 v[1:2], v[14:15], v[10:11]
	v_mul_f64 v[3:4], v[10:11], v[3:4]
	global_store_dwordx4 v[6:7], v[1:4], off
	s_cbranch_scc1 .LBB10_30
.LBB10_31:
	s_endpgm
	.section	.rodata,"a",@progbits
	.p2align	6, 0x0
	.amdhsa_kernel _ZN9rocsparseL32gtsv_interleaved_batch_lu_kernelILj128E21rocsparse_complex_numIdEEEviiiPT0_S4_S4_S4_PiS4_
		.amdhsa_group_segment_fixed_size 2048
		.amdhsa_private_segment_fixed_size 72
		.amdhsa_kernarg_size 64
		.amdhsa_user_sgpr_count 8
		.amdhsa_user_sgpr_private_segment_buffer 1
		.amdhsa_user_sgpr_dispatch_ptr 1
		.amdhsa_user_sgpr_queue_ptr 0
		.amdhsa_user_sgpr_kernarg_segment_ptr 1
		.amdhsa_user_sgpr_dispatch_id 0
		.amdhsa_user_sgpr_flat_scratch_init 0
		.amdhsa_user_sgpr_private_segment_size 0
		.amdhsa_uses_dynamic_stack 0
		.amdhsa_system_sgpr_private_segment_wavefront_offset 1
		.amdhsa_system_sgpr_workgroup_id_x 1
		.amdhsa_system_sgpr_workgroup_id_y 0
		.amdhsa_system_sgpr_workgroup_id_z 0
		.amdhsa_system_sgpr_workgroup_info 0
		.amdhsa_system_vgpr_workitem_id 2
		.amdhsa_next_free_vgpr 47
		.amdhsa_next_free_sgpr 32
		.amdhsa_reserve_vcc 1
		.amdhsa_reserve_flat_scratch 0
		.amdhsa_float_round_mode_32 0
		.amdhsa_float_round_mode_16_64 0
		.amdhsa_float_denorm_mode_32 3
		.amdhsa_float_denorm_mode_16_64 3
		.amdhsa_dx10_clamp 1
		.amdhsa_ieee_mode 1
		.amdhsa_fp16_overflow 0
		.amdhsa_exception_fp_ieee_invalid_op 0
		.amdhsa_exception_fp_denorm_src 0
		.amdhsa_exception_fp_ieee_div_zero 0
		.amdhsa_exception_fp_ieee_overflow 0
		.amdhsa_exception_fp_ieee_underflow 0
		.amdhsa_exception_fp_ieee_inexact 0
		.amdhsa_exception_int_div_zero 0
	.end_amdhsa_kernel
	.section	.text._ZN9rocsparseL32gtsv_interleaved_batch_lu_kernelILj128E21rocsparse_complex_numIdEEEviiiPT0_S4_S4_S4_PiS4_,"axG",@progbits,_ZN9rocsparseL32gtsv_interleaved_batch_lu_kernelILj128E21rocsparse_complex_numIdEEEviiiPT0_S4_S4_S4_PiS4_,comdat
.Lfunc_end10:
	.size	_ZN9rocsparseL32gtsv_interleaved_batch_lu_kernelILj128E21rocsparse_complex_numIdEEEviiiPT0_S4_S4_S4_PiS4_, .Lfunc_end10-_ZN9rocsparseL32gtsv_interleaved_batch_lu_kernelILj128E21rocsparse_complex_numIdEEEviiiPT0_S4_S4_S4_PiS4_
                                        ; -- End function
	.set _ZN9rocsparseL32gtsv_interleaved_batch_lu_kernelILj128E21rocsparse_complex_numIdEEEviiiPT0_S4_S4_S4_PiS4_.num_vgpr, 47
	.set _ZN9rocsparseL32gtsv_interleaved_batch_lu_kernelILj128E21rocsparse_complex_numIdEEEviiiPT0_S4_S4_S4_PiS4_.num_agpr, 0
	.set _ZN9rocsparseL32gtsv_interleaved_batch_lu_kernelILj128E21rocsparse_complex_numIdEEEviiiPT0_S4_S4_S4_PiS4_.numbered_sgpr, 32
	.set _ZN9rocsparseL32gtsv_interleaved_batch_lu_kernelILj128E21rocsparse_complex_numIdEEEviiiPT0_S4_S4_S4_PiS4_.num_named_barrier, 0
	.set _ZN9rocsparseL32gtsv_interleaved_batch_lu_kernelILj128E21rocsparse_complex_numIdEEEviiiPT0_S4_S4_S4_PiS4_.private_seg_size, 72
	.set _ZN9rocsparseL32gtsv_interleaved_batch_lu_kernelILj128E21rocsparse_complex_numIdEEEviiiPT0_S4_S4_S4_PiS4_.uses_vcc, 1
	.set _ZN9rocsparseL32gtsv_interleaved_batch_lu_kernelILj128E21rocsparse_complex_numIdEEEviiiPT0_S4_S4_S4_PiS4_.uses_flat_scratch, 0
	.set _ZN9rocsparseL32gtsv_interleaved_batch_lu_kernelILj128E21rocsparse_complex_numIdEEEviiiPT0_S4_S4_S4_PiS4_.has_dyn_sized_stack, 0
	.set _ZN9rocsparseL32gtsv_interleaved_batch_lu_kernelILj128E21rocsparse_complex_numIdEEEviiiPT0_S4_S4_S4_PiS4_.has_recursion, 0
	.set _ZN9rocsparseL32gtsv_interleaved_batch_lu_kernelILj128E21rocsparse_complex_numIdEEEviiiPT0_S4_S4_S4_PiS4_.has_indirect_call, 0
	.section	.AMDGPU.csdata,"",@progbits
; Kernel info:
; codeLenInByte = 3944
; TotalNumSgprs: 36
; NumVgprs: 47
; ScratchSize: 72
; MemoryBound: 0
; FloatMode: 240
; IeeeMode: 1
; LDSByteSize: 2048 bytes/workgroup (compile time only)
; SGPRBlocks: 4
; VGPRBlocks: 11
; NumSGPRsForWavesPerEU: 36
; NumVGPRsForWavesPerEU: 47
; Occupancy: 5
; WaveLimiterHint : 0
; COMPUTE_PGM_RSRC2:SCRATCH_EN: 1
; COMPUTE_PGM_RSRC2:USER_SGPR: 8
; COMPUTE_PGM_RSRC2:TRAP_HANDLER: 0
; COMPUTE_PGM_RSRC2:TGID_X_EN: 1
; COMPUTE_PGM_RSRC2:TGID_Y_EN: 0
; COMPUTE_PGM_RSRC2:TGID_Z_EN: 0
; COMPUTE_PGM_RSRC2:TIDIG_COMP_CNT: 2
	.section	.text._ZN9rocsparseL32gtsv_interleaved_batch_qr_kernelILj128E21rocsparse_complex_numIdEEEviiiPKT0_PS3_S6_S6_S6_,"axG",@progbits,_ZN9rocsparseL32gtsv_interleaved_batch_qr_kernelILj128E21rocsparse_complex_numIdEEEviiiPKT0_PS3_S6_S6_S6_,comdat
	.globl	_ZN9rocsparseL32gtsv_interleaved_batch_qr_kernelILj128E21rocsparse_complex_numIdEEEviiiPKT0_PS3_S6_S6_S6_ ; -- Begin function _ZN9rocsparseL32gtsv_interleaved_batch_qr_kernelILj128E21rocsparse_complex_numIdEEEviiiPKT0_PS3_S6_S6_S6_
	.p2align	8
	.type	_ZN9rocsparseL32gtsv_interleaved_batch_qr_kernelILj128E21rocsparse_complex_numIdEEEviiiPKT0_PS3_S6_S6_S6_,@function
_ZN9rocsparseL32gtsv_interleaved_batch_qr_kernelILj128E21rocsparse_complex_numIdEEEviiiPKT0_PS3_S6_S6_S6_: ; @_ZN9rocsparseL32gtsv_interleaved_batch_qr_kernelILj128E21rocsparse_complex_numIdEEEviiiPKT0_PS3_S6_S6_S6_
; %bb.0:
	s_load_dwordx4 s[0:3], s[4:5], 0x0
	s_waitcnt lgkmcnt(0)
	s_lshl_b32 s3, s6, 7
	v_or_b32_e32 v21, s3, v0
	v_cmp_gt_i32_e32 vcc, s1, v21
	s_and_saveexec_b64 s[6:7], vcc
	s_cbranch_execz .LBB11_13
; %bb.1:
	s_load_dwordx8 s[8:15], s[4:5], 0x18
	s_add_i32 s22, s0, -1
	s_cmp_lt_i32 s0, 2
	s_cbranch_scc1 .LBB11_10
; %bb.2:
	v_ashrrev_i32_e32 v22, 31, v21
	v_lshlrev_b64 v[5:6], 4, v[21:22]
	s_waitcnt lgkmcnt(0)
	v_mov_b32_e32 v40, s9
	v_add_co_u32_e32 v1, vcc, s8, v5
	v_addc_co_u32_e32 v2, vcc, v40, v6, vcc
	v_mov_b32_e32 v41, s11
	v_add_co_u32_e32 v5, vcc, s10, v5
	v_addc_co_u32_e32 v6, vcc, v41, v6, vcc
	global_load_dwordx4 v[1:4], v[1:2], off
	s_load_dwordx2 s[4:5], s[4:5], 0x10
	global_load_dwordx4 v[5:8], v[5:6], off
	s_mov_b32 s6, 0
	s_mov_b32 s16, 0
	s_brev_b32 s7, 8
	s_waitcnt lgkmcnt(0)
	v_mov_b32_e32 v42, s5
	v_mov_b32_e32 v43, 0x260
	s_brev_b32 s17, 1
	v_mov_b32_e32 v44, 0x100
	v_mov_b32_e32 v45, 0xffffff80
	;; [unrolled: 1-line block ×3, first 2 shown]
	s_mov_b32 s5, s22
	v_mov_b32_e32 v22, v21
	s_branch .LBB11_4
.LBB11_3:                               ;   in Loop: Header=BB11_4 Depth=1
	s_or_b64 exec, exec, s[18:19]
	v_ashrrev_i32_e32 v32, 31, v31
	v_lshlrev_b64 v[31:32], 4, v[31:32]
	v_mov_b32_e32 v23, s9
	v_add_co_u32_e32 v33, vcc, s8, v31
	v_addc_co_u32_e32 v34, vcc, v23, v32, vcc
	v_add_co_u32_e32 v38, vcc, s10, v31
	v_mov_b32_e32 v23, s11
	v_addc_co_u32_e32 v39, vcc, v23, v32, vcc
	v_cmp_gt_f64_e32 vcc, s[6:7], v[36:37]
	s_add_i32 s5, s5, -1
	s_cmp_eq_u32 s5, 0
	v_cndmask_b32_e32 v23, 0, v44, vcc
	v_ldexp_f64 v[35:36], v[36:37], v23
	v_cndmask_b32_e32 v23, 0, v45, vcc
	v_rsq_f64_e32 v[46:47], v[35:36]
	v_cmp_class_f64_e32 vcc, v[35:36], v43
	v_mul_f64 v[48:49], v[35:36], v[46:47]
	v_mul_f64 v[46:47], v[46:47], 0.5
	v_fma_f64 v[50:51], -v[46:47], v[48:49], 0.5
	v_fma_f64 v[48:49], v[48:49], v[50:51], v[48:49]
	v_fma_f64 v[46:47], v[46:47], v[50:51], v[46:47]
	v_fma_f64 v[52:53], -v[48:49], v[48:49], v[35:36]
	v_fma_f64 v[48:49], v[52:53], v[46:47], v[48:49]
	v_fma_f64 v[50:51], -v[48:49], v[48:49], v[35:36]
	v_fma_f64 v[46:47], v[50:51], v[46:47], v[48:49]
	v_ldexp_f64 v[46:47], v[46:47], v23
	v_ashrrev_i32_e32 v23, 31, v22
	v_cndmask_b32_e32 v36, v47, v36, vcc
	v_cndmask_b32_e32 v35, v46, v35, vcc
	v_fma_f64 v[46:47], v[35:36], v[35:36], 0
	v_div_scale_f64 v[48:49], s[18:19], v[46:47], v[46:47], 1.0
	v_rcp_f64_e32 v[50:51], v[48:49]
	v_fma_f64 v[52:53], -v[48:49], v[50:51], 1.0
	v_fma_f64 v[50:51], v[50:51], v[52:53], v[50:51]
	v_fma_f64 v[52:53], -v[48:49], v[50:51], 1.0
	v_fma_f64 v[50:51], v[50:51], v[52:53], v[50:51]
	v_div_scale_f64 v[52:53], vcc, 1.0, v[46:47], 1.0
	v_mul_f64 v[54:55], v[52:53], v[50:51]
	v_fma_f64 v[48:49], -v[48:49], v[54:55], v[52:53]
	v_mul_f64 v[52:53], v[19:20], s[16:17]
	s_nop 0
	v_div_fmas_f64 v[48:49], v[48:49], v[50:51], v[54:55]
	v_mul_f64 v[50:51], v[1:2], s[16:17]
	v_mul_f64 v[54:55], v[17:18], s[16:17]
	v_fma_f64 v[52:53], v[17:18], v[35:36], v[52:53]
	v_fma_f64 v[50:51], -v[3:4], v[35:36], v[50:51]
	v_div_fixup_f64 v[46:47], v[48:49], v[46:47], 1.0
	v_mul_f64 v[48:49], v[3:4], s[16:17]
	v_mul_f64 v[50:51], v[50:51], v[46:47]
	v_fma_f64 v[48:49], v[1:2], v[35:36], v[48:49]
	v_fma_f64 v[35:36], -v[19:20], v[35:36], v[54:55]
	v_mul_f64 v[52:53], v[52:53], v[46:47]
	v_mul_f64 v[48:49], v[48:49], v[46:47]
	;; [unrolled: 1-line block ×3, first 2 shown]
	v_mul_f64 v[46:47], v[35:36], -v[19:20]
	v_fma_f64 v[46:47], v[17:18], v[52:53], v[46:47]
	v_mul_f64 v[17:18], v[17:18], v[35:36]
	v_fma_f64 v[19:20], v[19:20], v[52:53], v[17:18]
	v_fma_f64 v[17:18], v[1:2], v[48:49], v[46:47]
	v_fma_f64 v[17:18], -v[3:4], v[50:51], v[17:18]
	v_fma_f64 v[3:4], v[3:4], v[48:49], v[19:20]
	v_fma_f64 v[19:20], v[1:2], v[50:51], v[3:4]
	s_waitcnt vmcnt(1)
	v_mul_f64 v[1:2], v[15:16], v[50:51]
	v_mul_f64 v[3:4], v[13:14], -v[50:51]
	global_store_dwordx4 v[33:34], v[17:20], off
	s_nop 0
	v_mul_f64 v[17:18], v[35:36], -v[15:16]
	v_fma_f64 v[1:2], v[13:14], v[48:49], v[1:2]
	v_fma_f64 v[3:4], v[15:16], v[48:49], v[3:4]
	;; [unrolled: 1-line block ×3, first 2 shown]
	v_mul_f64 v[13:14], v[13:14], v[35:36]
	v_fma_f64 v[1:2], -v[5:6], v[52:53], v[1:2]
	v_fma_f64 v[3:4], -v[7:8], v[52:53], v[3:4]
	v_fma_f64 v[15:16], v[15:16], v[52:53], v[13:14]
	v_fma_f64 v[13:14], v[5:6], v[48:49], v[17:18]
	v_fma_f64 v[1:2], v[7:8], -v[35:36], v[1:2]
	v_fma_f64 v[3:4], v[5:6], v[35:36], v[3:4]
	v_fma_f64 v[13:14], -v[7:8], v[50:51], v[13:14]
	v_fma_f64 v[7:8], v[7:8], v[48:49], v[15:16]
	global_store_dwordx4 v[29:30], v[1:4], off
	v_fma_f64 v[15:16], v[5:6], v[50:51], v[7:8]
	s_waitcnt vmcnt(2)
	v_mul_f64 v[5:6], v[11:12], v[50:51]
	v_mul_f64 v[7:8], v[9:10], -v[50:51]
	global_store_dwordx4 v[38:39], v[13:16], off
	s_nop 0
	v_mul_f64 v[13:14], v[35:36], -v[11:12]
	v_fma_f64 v[5:6], v[9:10], v[48:49], v[5:6]
	v_fma_f64 v[7:8], v[11:12], v[48:49], v[7:8]
	;; [unrolled: 1-line block ×3, first 2 shown]
	v_mul_f64 v[9:10], v[9:10], v[35:36]
	global_store_dwordx4 v[27:28], v[5:8], off
	v_fma_f64 v[15:16], v[11:12], v[52:53], v[9:10]
	v_lshlrev_b64 v[9:10], 4, v[22:23]
	v_mov_b32_e32 v11, s13
	v_add_co_u32_e32 v9, vcc, s12, v9
	v_addc_co_u32_e32 v10, vcc, v11, v10, vcc
	v_add_co_u32_e32 v27, vcc, s14, v31
	global_store_dwordx4 v[9:10], v[13:16], off
	v_add_u32_e32 v22, s1, v22
	v_mov_b32_e32 v13, s15
	v_addc_co_u32_e32 v28, vcc, v13, v32, vcc
	v_add_co_u32_e32 v25, vcc, s14, v25
	v_addc_co_u32_e32 v26, vcc, v13, v26, vcc
	global_load_dwordx4 v[9:12], v[27:28], off
	global_load_dwordx4 v[13:16], v[25:26], off
	v_mov_b32_e32 v31, v24
	s_waitcnt vmcnt(0)
	v_mul_f64 v[17:18], v[35:36], -v[15:16]
	v_mul_f64 v[19:20], v[35:36], v[13:14]
	v_fma_f64 v[17:18], v[13:14], v[52:53], v[17:18]
	v_fma_f64 v[19:20], v[15:16], v[52:53], v[19:20]
	;; [unrolled: 1-line block ×4, first 2 shown]
	v_fma_f64 v[17:18], -v[11:12], v[50:51], v[17:18]
	v_fma_f64 v[19:20], v[9:10], v[50:51], v[19:20]
	global_store_dwordx4 v[27:28], v[17:20], off
	s_nop 0
	v_mul_f64 v[17:18], v[50:51], v[15:16]
	v_fma_f64 v[17:18], v[13:14], v[48:49], v[17:18]
	v_mul_f64 v[13:14], v[13:14], -v[50:51]
	v_fma_f64 v[15:16], v[15:16], v[48:49], v[13:14]
	v_fma_f64 v[13:14], -v[9:10], v[52:53], v[17:18]
	v_fma_f64 v[13:14], v[11:12], -v[35:36], v[13:14]
	v_fma_f64 v[11:12], -v[11:12], v[52:53], v[15:16]
	v_fma_f64 v[15:16], v[9:10], v[35:36], v[11:12]
	global_store_dwordx4 v[25:26], v[13:16], off
	s_cbranch_scc1 .LBB11_10
.LBB11_4:                               ; =>This Inner Loop Header: Depth=1
	v_add_u32_e32 v24, s2, v31
	v_ashrrev_i32_e32 v25, 31, v24
	v_lshlrev_b64 v[25:26], 4, v[24:25]
	s_waitcnt vmcnt(1)
	v_mul_f64 v[32:33], v[1:2], -v[3:4]
	v_add_co_u32_e32 v9, vcc, s4, v25
	v_addc_co_u32_e32 v10, vcc, v42, v26, vcc
	global_load_dwordx4 v[17:20], v[9:10], off
	v_add_co_u32_e32 v29, vcc, s8, v25
	v_addc_co_u32_e32 v30, vcc, v40, v26, vcc
	v_add_co_u32_e32 v27, vcc, s10, v25
	v_addc_co_u32_e32 v28, vcc, v41, v26, vcc
	global_load_dwordx4 v[13:16], v[29:30], off
	global_load_dwordx4 v[9:12], v[27:28], off
	v_fma_f64 v[32:33], v[3:4], v[1:2], v[32:33]
	v_mul_f64 v[36:37], v[3:4], v[3:4]
	v_fma_f64 v[36:37], v[1:2], v[1:2], v[36:37]
	s_waitcnt vmcnt(2)
	v_mul_f64 v[34:35], v[17:18], -v[19:20]
	v_mul_f64 v[38:39], v[19:20], v[19:20]
	v_fma_f64 v[34:35], v[19:20], v[17:18], v[34:35]
	v_fma_f64 v[46:47], v[17:18], v[17:18], v[38:39]
	v_add_f64 v[38:39], v[34:35], v[32:33]
	v_add_f64 v[32:33], v[46:47], v[36:37]
                                        ; implicit-def: $vgpr36_vgpr37
	v_cmp_gt_f64_e32 vcc, 0, v[38:39]
	v_xor_b32_e32 v23, 0x80000000, v39
	v_mov_b32_e32 v34, v38
	v_cndmask_b32_e32 v35, v39, v23, vcc
	v_cmp_ngt_f64_e32 vcc, v[32:33], v[34:35]
	s_and_saveexec_b64 s[18:19], vcc
	s_xor_b64 s[18:19], exec, s[18:19]
	s_cbranch_execz .LBB11_8
; %bb.5:                                ;   in Loop: Header=BB11_4 Depth=1
	v_cmp_neq_f64_e32 vcc, 0, v[38:39]
	v_mov_b32_e32 v36, 0
	v_mov_b32_e32 v37, 0
	s_and_saveexec_b64 s[20:21], vcc
	s_cbranch_execz .LBB11_7
; %bb.6:                                ;   in Loop: Header=BB11_4 Depth=1
	v_div_scale_f64 v[36:37], s[24:25], v[34:35], v[34:35], v[32:33]
	v_rcp_f64_e32 v[38:39], v[36:37]
	v_fma_f64 v[46:47], -v[36:37], v[38:39], 1.0
	v_fma_f64 v[38:39], v[38:39], v[46:47], v[38:39]
	v_div_scale_f64 v[46:47], vcc, v[32:33], v[34:35], v[32:33]
	v_fma_f64 v[48:49], -v[36:37], v[38:39], 1.0
	v_fma_f64 v[38:39], v[38:39], v[48:49], v[38:39]
	v_mul_f64 v[48:49], v[46:47], v[38:39]
	v_fma_f64 v[36:37], -v[36:37], v[48:49], v[46:47]
	v_div_fmas_f64 v[36:37], v[36:37], v[38:39], v[48:49]
	v_div_fixup_f64 v[32:33], v[36:37], v[34:35], v[32:33]
	v_fma_f64 v[32:33], v[32:33], v[32:33], 1.0
	v_cmp_gt_f64_e32 vcc, s[6:7], v[32:33]
	v_cndmask_b32_e32 v23, 0, v44, vcc
	v_ldexp_f64 v[32:33], v[32:33], v23
	v_cndmask_b32_e32 v23, 0, v45, vcc
	v_rsq_f64_e32 v[36:37], v[32:33]
	v_cmp_class_f64_e32 vcc, v[32:33], v43
	v_mul_f64 v[38:39], v[32:33], v[36:37]
	v_mul_f64 v[36:37], v[36:37], 0.5
	v_fma_f64 v[46:47], -v[36:37], v[38:39], 0.5
	v_fma_f64 v[38:39], v[38:39], v[46:47], v[38:39]
	v_fma_f64 v[36:37], v[36:37], v[46:47], v[36:37]
	v_fma_f64 v[46:47], -v[38:39], v[38:39], v[32:33]
	v_fma_f64 v[38:39], v[46:47], v[36:37], v[38:39]
	v_fma_f64 v[46:47], -v[38:39], v[38:39], v[32:33]
	v_fma_f64 v[36:37], v[46:47], v[36:37], v[38:39]
	v_ldexp_f64 v[36:37], v[36:37], v23
	v_cndmask_b32_e32 v33, v37, v33, vcc
	v_cndmask_b32_e32 v32, v36, v32, vcc
	v_mul_f64 v[36:37], v[34:35], v[32:33]
.LBB11_7:                               ;   in Loop: Header=BB11_4 Depth=1
	s_or_b64 exec, exec, s[20:21]
                                        ; implicit-def: $vgpr32_vgpr33
                                        ; implicit-def: $vgpr34_vgpr35
.LBB11_8:                               ;   in Loop: Header=BB11_4 Depth=1
	s_andn2_saveexec_b64 s[18:19], s[18:19]
	s_cbranch_execz .LBB11_3
; %bb.9:                                ;   in Loop: Header=BB11_4 Depth=1
	v_div_scale_f64 v[36:37], s[20:21], v[32:33], v[32:33], v[34:35]
	v_rcp_f64_e32 v[38:39], v[36:37]
	v_fma_f64 v[46:47], -v[36:37], v[38:39], 1.0
	v_fma_f64 v[38:39], v[38:39], v[46:47], v[38:39]
	v_div_scale_f64 v[46:47], vcc, v[34:35], v[32:33], v[34:35]
	v_fma_f64 v[48:49], -v[36:37], v[38:39], 1.0
	v_fma_f64 v[38:39], v[38:39], v[48:49], v[38:39]
	v_mul_f64 v[48:49], v[46:47], v[38:39]
	v_fma_f64 v[36:37], -v[36:37], v[48:49], v[46:47]
	v_div_fmas_f64 v[36:37], v[36:37], v[38:39], v[48:49]
	v_div_fixup_f64 v[34:35], v[36:37], v[32:33], v[34:35]
	v_fma_f64 v[34:35], v[34:35], v[34:35], 1.0
	v_cmp_gt_f64_e32 vcc, s[6:7], v[34:35]
	v_cndmask_b32_e32 v23, 0, v44, vcc
	v_ldexp_f64 v[34:35], v[34:35], v23
	v_cndmask_b32_e32 v23, 0, v45, vcc
	v_rsq_f64_e32 v[36:37], v[34:35]
	v_cmp_class_f64_e32 vcc, v[34:35], v43
	v_mul_f64 v[38:39], v[34:35], v[36:37]
	v_mul_f64 v[36:37], v[36:37], 0.5
	v_fma_f64 v[46:47], -v[36:37], v[38:39], 0.5
	v_fma_f64 v[38:39], v[38:39], v[46:47], v[38:39]
	v_fma_f64 v[36:37], v[36:37], v[46:47], v[36:37]
	v_fma_f64 v[46:47], -v[38:39], v[38:39], v[34:35]
	v_fma_f64 v[38:39], v[46:47], v[36:37], v[38:39]
	v_fma_f64 v[46:47], -v[38:39], v[38:39], v[34:35]
	v_fma_f64 v[36:37], v[46:47], v[36:37], v[38:39]
	v_ldexp_f64 v[36:37], v[36:37], v23
	v_cndmask_b32_e32 v35, v37, v35, vcc
	v_cndmask_b32_e32 v34, v36, v34, vcc
	v_mul_f64 v[36:37], v[32:33], v[34:35]
	s_branch .LBB11_3
.LBB11_10:
	s_mul_i32 s4, s2, s22
	v_add_u32_e32 v1, s4, v21
	v_ashrrev_i32_e32 v2, 31, v1
	v_lshlrev_b64 v[5:6], 4, v[1:2]
	s_waitcnt lgkmcnt(0)
	v_mov_b32_e32 v2, s9
	v_add_co_u32_e32 v1, vcc, s8, v5
	v_addc_co_u32_e32 v2, vcc, v2, v6, vcc
	global_load_dwordx4 v[1:4], v[1:2], off
	v_add_co_u32_e32 v17, vcc, s14, v5
	s_sub_i32 s5, s4, s2
	v_add_u32_e32 v9, s5, v21
	v_ashrrev_i32_e32 v10, 31, v9
	v_lshlrev_b64 v[19:20], 4, v[9:10]
	v_mov_b32_e32 v11, s9
	s_cmp_lt_i32 s0, 3
	s_waitcnt vmcnt(0)
	v_mul_f64 v[7:8], v[3:4], v[3:4]
	v_fma_f64 v[13:14], v[1:2], v[1:2], v[7:8]
	v_mov_b32_e32 v7, s15
	v_addc_co_u32_e32 v18, vcc, v7, v6, vcc
	global_load_dwordx4 v[5:8], v[17:18], off
	v_add_co_u32_e32 v9, vcc, s8, v19
	v_addc_co_u32_e32 v10, vcc, v11, v20, vcc
	v_div_scale_f64 v[15:16], s[6:7], v[13:14], v[13:14], 1.0
	global_load_dwordx4 v[9:12], v[9:10], off
	v_rcp_f64_e32 v[22:23], v[15:16]
	v_fma_f64 v[24:25], -v[15:16], v[22:23], 1.0
	v_fma_f64 v[22:23], v[22:23], v[24:25], v[22:23]
	v_div_scale_f64 v[24:25], vcc, 1.0, v[13:14], 1.0
	v_fma_f64 v[26:27], -v[15:16], v[22:23], 1.0
	v_fma_f64 v[22:23], v[22:23], v[26:27], v[22:23]
	v_mul_f64 v[26:27], v[24:25], v[22:23]
	v_fma_f64 v[15:16], -v[15:16], v[26:27], v[24:25]
	v_mov_b32_e32 v25, s11
	v_div_fmas_f64 v[15:16], v[15:16], v[22:23], v[26:27]
	s_waitcnt vmcnt(1)
	v_mul_f64 v[22:23], v[3:4], -v[5:6]
	v_mul_f64 v[3:4], v[3:4], v[7:8]
	v_add_co_u32_e32 v24, vcc, s10, v19
	v_addc_co_u32_e32 v25, vcc, v25, v20, vcc
	s_waitcnt vmcnt(0)
	v_mul_f64 v[26:27], v[11:12], v[11:12]
	v_add_co_u32_e32 v19, vcc, s14, v19
	v_fma_f64 v[7:8], v[7:8], v[1:2], v[22:23]
	v_fma_f64 v[5:6], v[5:6], v[1:2], v[3:4]
	global_load_dwordx4 v[1:4], v[24:25], off
	v_fma_f64 v[22:23], v[9:10], v[9:10], v[26:27]
	v_div_fixup_f64 v[13:14], v[15:16], v[13:14], 1.0
	v_div_scale_f64 v[24:25], s[6:7], v[22:23], v[22:23], 1.0
	v_mul_f64 v[7:8], v[13:14], v[7:8]
	v_mul_f64 v[5:6], v[13:14], v[5:6]
	v_mov_b32_e32 v13, s15
	v_addc_co_u32_e32 v20, vcc, v13, v20, vcc
	global_store_dwordx4 v[17:18], v[5:8], off
	global_load_dwordx4 v[13:16], v[19:20], off
	v_rcp_f64_e32 v[17:18], v[24:25]
	v_fma_f64 v[26:27], -v[24:25], v[17:18], 1.0
	v_fma_f64 v[17:18], v[17:18], v[26:27], v[17:18]
	v_div_scale_f64 v[26:27], vcc, 1.0, v[22:23], 1.0
	v_fma_f64 v[28:29], -v[24:25], v[17:18], 1.0
	v_fma_f64 v[17:18], v[17:18], v[28:29], v[17:18]
	v_mul_f64 v[28:29], v[26:27], v[17:18]
	s_waitcnt vmcnt(2)
	v_mul_f64 v[30:31], v[7:8], v[1:2]
	v_mul_f64 v[7:8], v[7:8], -v[3:4]
	v_fma_f64 v[24:25], -v[24:25], v[28:29], v[26:27]
	v_fma_f64 v[3:4], v[3:4], v[5:6], v[30:31]
	v_fma_f64 v[1:2], v[1:2], v[5:6], v[7:8]
	v_div_fmas_f64 v[5:6], v[24:25], v[17:18], v[28:29]
	s_waitcnt vmcnt(0)
	v_add_f64 v[3:4], v[15:16], -v[3:4]
	v_add_f64 v[1:2], v[13:14], -v[1:2]
	v_div_fixup_f64 v[5:6], v[5:6], v[22:23], 1.0
	v_mul_f64 v[7:8], v[3:4], v[11:12]
	v_mul_f64 v[11:12], v[11:12], -v[1:2]
	v_fma_f64 v[1:2], v[1:2], v[9:10], v[7:8]
	v_fma_f64 v[3:4], v[3:4], v[9:10], v[11:12]
	v_mul_f64 v[1:2], v[1:2], v[5:6]
	v_mul_f64 v[3:4], v[3:4], v[5:6]
	global_store_dwordx4 v[19:20], v[1:4], off
	s_cbranch_scc1 .LBB11_13
; %bb.11:
	s_add_i32 s5, s0, -3
	s_mul_i32 s6, s1, s5
	s_add_i32 s0, s0, -2
	s_add_i32 s3, s3, s6
	v_add_u32_e32 v0, s3, v0
	s_mul_i32 s3, s2, s0
	s_mul_i32 s5, s2, s5
.LBB11_12:                              ; =>This Inner Loop Header: Depth=1
	v_add_u32_e32 v1, s5, v21
	v_ashrrev_i32_e32 v2, 31, v1
	v_lshlrev_b64 v[18:19], 4, v[1:2]
	v_mov_b32_e32 v3, s9
	v_add_co_u32_e32 v1, vcc, s8, v18
	v_addc_co_u32_e32 v2, vcc, v3, v19, vcc
	global_load_dwordx4 v[2:5], v[1:2], off
	v_ashrrev_i32_e32 v1, 31, v0
	v_lshlrev_b64 v[10:11], 4, v[0:1]
	v_add_u32_e32 v6, s3, v21
	v_mov_b32_e32 v13, s13
	v_add_co_u32_e32 v26, vcc, s12, v10
	v_ashrrev_i32_e32 v7, 31, v6
	v_addc_co_u32_e32 v27, vcc, v13, v11, vcc
	v_add_u32_e32 v8, s4, v21
	v_mov_b32_e32 v12, s11
	v_lshlrev_b64 v[6:7], 4, v[6:7]
	v_add_co_u32_e32 v28, vcc, s10, v18
	v_ashrrev_i32_e32 v9, 31, v8
	v_addc_co_u32_e32 v29, vcc, v12, v19, vcc
	v_mov_b32_e32 v20, s15
	v_lshlrev_b64 v[8:9], 4, v[8:9]
	v_add_co_u32_e32 v30, vcc, s14, v6
	v_addc_co_u32_e32 v31, vcc, v20, v7, vcc
	v_add_co_u32_e32 v32, vcc, s14, v8
	v_addc_co_u32_e32 v33, vcc, v20, v9, vcc
	global_load_dwordx4 v[6:9], v[30:31], off
	global_load_dwordx4 v[10:13], v[28:29], off
	;; [unrolled: 1-line block ×4, first 2 shown]
	v_add_co_u32_e32 v18, vcc, s14, v18
	v_addc_co_u32_e32 v19, vcc, v20, v19, vcc
	global_load_dwordx4 v[26:29], v[18:19], off
	s_add_i32 s0, s0, -1
	v_subrev_u32_e32 v21, s2, v21
	v_subrev_u32_e32 v0, s1, v0
	s_cmp_lg_u32 s0, 0
	s_waitcnt vmcnt(5)
	v_mul_f64 v[30:31], v[4:5], v[4:5]
	v_fma_f64 v[30:31], v[2:3], v[2:3], v[30:31]
	v_div_scale_f64 v[32:33], s[6:7], v[30:31], v[30:31], 1.0
	s_waitcnt vmcnt(3)
	v_mul_f64 v[40:41], v[8:9], -v[12:13]
	v_mul_f64 v[8:9], v[8:9], v[10:11]
	v_rcp_f64_e32 v[34:35], v[32:33]
	v_fma_f64 v[10:11], v[10:11], v[6:7], v[40:41]
	v_fma_f64 v[6:7], v[12:13], v[6:7], v[8:9]
	s_waitcnt vmcnt(0)
	v_add_f64 v[10:11], v[26:27], -v[10:11]
	v_add_f64 v[6:7], v[28:29], -v[6:7]
	v_fma_f64 v[36:37], -v[32:33], v[34:35], 1.0
	v_fma_f64 v[34:35], v[34:35], v[36:37], v[34:35]
	v_div_scale_f64 v[36:37], vcc, 1.0, v[30:31], 1.0
	v_fma_f64 v[38:39], -v[32:33], v[34:35], 1.0
	v_fma_f64 v[34:35], v[34:35], v[38:39], v[34:35]
	v_mul_f64 v[38:39], v[24:25], -v[16:17]
	v_mul_f64 v[24:25], v[24:25], v[14:15]
	v_mul_f64 v[8:9], v[36:37], v[34:35]
	v_fma_f64 v[12:13], v[14:15], v[22:23], v[38:39]
	v_fma_f64 v[14:15], v[16:17], v[22:23], v[24:25]
	v_fma_f64 v[16:17], -v[32:33], v[8:9], v[36:37]
	v_add_f64 v[10:11], v[10:11], -v[12:13]
	v_add_f64 v[6:7], v[6:7], -v[14:15]
	v_div_fmas_f64 v[8:9], v[16:17], v[34:35], v[8:9]
	v_mul_f64 v[12:13], v[4:5], v[6:7]
	v_mul_f64 v[4:5], v[4:5], -v[10:11]
	v_fma_f64 v[10:11], v[10:11], v[2:3], v[12:13]
	v_fma_f64 v[3:4], v[6:7], v[2:3], v[4:5]
	v_div_fixup_f64 v[5:6], v[8:9], v[30:31], 1.0
	v_mul_f64 v[1:2], v[10:11], v[5:6]
	v_mul_f64 v[3:4], v[5:6], v[3:4]
	global_store_dwordx4 v[18:19], v[1:4], off
	s_cbranch_scc1 .LBB11_12
.LBB11_13:
	s_endpgm
	.section	.rodata,"a",@progbits
	.p2align	6, 0x0
	.amdhsa_kernel _ZN9rocsparseL32gtsv_interleaved_batch_qr_kernelILj128E21rocsparse_complex_numIdEEEviiiPKT0_PS3_S6_S6_S6_
		.amdhsa_group_segment_fixed_size 0
		.amdhsa_private_segment_fixed_size 0
		.amdhsa_kernarg_size 56
		.amdhsa_user_sgpr_count 6
		.amdhsa_user_sgpr_private_segment_buffer 1
		.amdhsa_user_sgpr_dispatch_ptr 0
		.amdhsa_user_sgpr_queue_ptr 0
		.amdhsa_user_sgpr_kernarg_segment_ptr 1
		.amdhsa_user_sgpr_dispatch_id 0
		.amdhsa_user_sgpr_flat_scratch_init 0
		.amdhsa_user_sgpr_private_segment_size 0
		.amdhsa_uses_dynamic_stack 0
		.amdhsa_system_sgpr_private_segment_wavefront_offset 0
		.amdhsa_system_sgpr_workgroup_id_x 1
		.amdhsa_system_sgpr_workgroup_id_y 0
		.amdhsa_system_sgpr_workgroup_id_z 0
		.amdhsa_system_sgpr_workgroup_info 0
		.amdhsa_system_vgpr_workitem_id 0
		.amdhsa_next_free_vgpr 56
		.amdhsa_next_free_sgpr 26
		.amdhsa_reserve_vcc 1
		.amdhsa_reserve_flat_scratch 0
		.amdhsa_float_round_mode_32 0
		.amdhsa_float_round_mode_16_64 0
		.amdhsa_float_denorm_mode_32 3
		.amdhsa_float_denorm_mode_16_64 3
		.amdhsa_dx10_clamp 1
		.amdhsa_ieee_mode 1
		.amdhsa_fp16_overflow 0
		.amdhsa_exception_fp_ieee_invalid_op 0
		.amdhsa_exception_fp_denorm_src 0
		.amdhsa_exception_fp_ieee_div_zero 0
		.amdhsa_exception_fp_ieee_overflow 0
		.amdhsa_exception_fp_ieee_underflow 0
		.amdhsa_exception_fp_ieee_inexact 0
		.amdhsa_exception_int_div_zero 0
	.end_amdhsa_kernel
	.section	.text._ZN9rocsparseL32gtsv_interleaved_batch_qr_kernelILj128E21rocsparse_complex_numIdEEEviiiPKT0_PS3_S6_S6_S6_,"axG",@progbits,_ZN9rocsparseL32gtsv_interleaved_batch_qr_kernelILj128E21rocsparse_complex_numIdEEEviiiPKT0_PS3_S6_S6_S6_,comdat
.Lfunc_end11:
	.size	_ZN9rocsparseL32gtsv_interleaved_batch_qr_kernelILj128E21rocsparse_complex_numIdEEEviiiPKT0_PS3_S6_S6_S6_, .Lfunc_end11-_ZN9rocsparseL32gtsv_interleaved_batch_qr_kernelILj128E21rocsparse_complex_numIdEEEviiiPKT0_PS3_S6_S6_S6_
                                        ; -- End function
	.set _ZN9rocsparseL32gtsv_interleaved_batch_qr_kernelILj128E21rocsparse_complex_numIdEEEviiiPKT0_PS3_S6_S6_S6_.num_vgpr, 56
	.set _ZN9rocsparseL32gtsv_interleaved_batch_qr_kernelILj128E21rocsparse_complex_numIdEEEviiiPKT0_PS3_S6_S6_S6_.num_agpr, 0
	.set _ZN9rocsparseL32gtsv_interleaved_batch_qr_kernelILj128E21rocsparse_complex_numIdEEEviiiPKT0_PS3_S6_S6_S6_.numbered_sgpr, 26
	.set _ZN9rocsparseL32gtsv_interleaved_batch_qr_kernelILj128E21rocsparse_complex_numIdEEEviiiPKT0_PS3_S6_S6_S6_.num_named_barrier, 0
	.set _ZN9rocsparseL32gtsv_interleaved_batch_qr_kernelILj128E21rocsparse_complex_numIdEEEviiiPKT0_PS3_S6_S6_S6_.private_seg_size, 0
	.set _ZN9rocsparseL32gtsv_interleaved_batch_qr_kernelILj128E21rocsparse_complex_numIdEEEviiiPKT0_PS3_S6_S6_S6_.uses_vcc, 1
	.set _ZN9rocsparseL32gtsv_interleaved_batch_qr_kernelILj128E21rocsparse_complex_numIdEEEviiiPKT0_PS3_S6_S6_S6_.uses_flat_scratch, 0
	.set _ZN9rocsparseL32gtsv_interleaved_batch_qr_kernelILj128E21rocsparse_complex_numIdEEEviiiPKT0_PS3_S6_S6_S6_.has_dyn_sized_stack, 0
	.set _ZN9rocsparseL32gtsv_interleaved_batch_qr_kernelILj128E21rocsparse_complex_numIdEEEviiiPKT0_PS3_S6_S6_S6_.has_recursion, 0
	.set _ZN9rocsparseL32gtsv_interleaved_batch_qr_kernelILj128E21rocsparse_complex_numIdEEEviiiPKT0_PS3_S6_S6_S6_.has_indirect_call, 0
	.section	.AMDGPU.csdata,"",@progbits
; Kernel info:
; codeLenInByte = 2748
; TotalNumSgprs: 30
; NumVgprs: 56
; ScratchSize: 0
; MemoryBound: 1
; FloatMode: 240
; IeeeMode: 1
; LDSByteSize: 0 bytes/workgroup (compile time only)
; SGPRBlocks: 3
; VGPRBlocks: 13
; NumSGPRsForWavesPerEU: 30
; NumVGPRsForWavesPerEU: 56
; Occupancy: 4
; WaveLimiterHint : 0
; COMPUTE_PGM_RSRC2:SCRATCH_EN: 0
; COMPUTE_PGM_RSRC2:USER_SGPR: 6
; COMPUTE_PGM_RSRC2:TRAP_HANDLER: 0
; COMPUTE_PGM_RSRC2:TGID_X_EN: 1
; COMPUTE_PGM_RSRC2:TGID_Y_EN: 0
; COMPUTE_PGM_RSRC2:TGID_Z_EN: 0
; COMPUTE_PGM_RSRC2:TIDIG_COMP_CNT: 0
	.section	.AMDGPU.gpr_maximums,"",@progbits
	.set amdgpu.max_num_vgpr, 0
	.set amdgpu.max_num_agpr, 0
	.set amdgpu.max_num_sgpr, 0
	.section	.AMDGPU.csdata,"",@progbits
	.type	__hip_cuid_e65d5ce6efe2dd65,@object ; @__hip_cuid_e65d5ce6efe2dd65
	.section	.bss,"aw",@nobits
	.globl	__hip_cuid_e65d5ce6efe2dd65
__hip_cuid_e65d5ce6efe2dd65:
	.byte	0                               ; 0x0
	.size	__hip_cuid_e65d5ce6efe2dd65, 1

	.ident	"AMD clang version 22.0.0git (https://github.com/RadeonOpenCompute/llvm-project roc-7.2.4 26084 f58b06dce1f9c15707c5f808fd002e18c2accf7e)"
	.section	".note.GNU-stack","",@progbits
	.addrsig
	.addrsig_sym __hip_cuid_e65d5ce6efe2dd65
	.amdgpu_metadata
---
amdhsa.kernels:
  - .args:
      - .offset:         0
        .size:           4
        .value_kind:     by_value
      - .offset:         4
        .size:           4
        .value_kind:     by_value
      - .offset:         8
        .size:           4
        .value_kind:     by_value
      - .actual_access:  read_only
        .address_space:  global
        .offset:         16
        .size:           8
        .value_kind:     global_buffer
      - .actual_access:  read_only
        .address_space:  global
        .offset:         24
        .size:           8
        .value_kind:     global_buffer
      - .actual_access:  read_only
        .address_space:  global
        .offset:         32
        .size:           8
        .value_kind:     global_buffer
      - .address_space:  global
        .offset:         40
        .size:           8
        .value_kind:     global_buffer
      - .address_space:  global
        .offset:         48
        .size:           8
        .value_kind:     global_buffer
      - .address_space:  global
        .offset:         56
        .size:           8
        .value_kind:     global_buffer
    .group_segment_fixed_size: 0
    .kernarg_segment_align: 8
    .kernarg_segment_size: 64
    .language:       OpenCL C
    .language_version:
      - 2
      - 0
    .max_flat_workgroup_size: 128
    .name:           _ZN9rocsparseL36gtsv_interleaved_batch_thomas_kernelILj128EfEEviiiPKT0_S3_S3_PS1_S4_S4_
    .private_segment_fixed_size: 0
    .sgpr_count:     34
    .sgpr_spill_count: 0
    .symbol:         _ZN9rocsparseL36gtsv_interleaved_batch_thomas_kernelILj128EfEEviiiPKT0_S3_S3_PS1_S4_S4_.kd
    .uniform_work_group_size: 1
    .uses_dynamic_stack: false
    .vgpr_count:     31
    .vgpr_spill_count: 0
    .wavefront_size: 64
  - .args:
      - .offset:         0
        .size:           4
        .value_kind:     by_value
      - .offset:         4
        .size:           4
        .value_kind:     by_value
      - .offset:         8
        .size:           4
        .value_kind:     by_value
      - .address_space:  global
        .offset:         16
        .size:           8
        .value_kind:     global_buffer
      - .address_space:  global
        .offset:         24
        .size:           8
        .value_kind:     global_buffer
      - .address_space:  global
        .offset:         32
        .size:           8
        .value_kind:     global_buffer
      - .address_space:  global
        .offset:         40
        .size:           8
        .value_kind:     global_buffer
      - .address_space:  global
        .offset:         48
        .size:           8
        .value_kind:     global_buffer
      - .address_space:  global
        .offset:         56
        .size:           8
        .value_kind:     global_buffer
    .group_segment_fixed_size: 0
    .kernarg_segment_align: 8
    .kernarg_segment_size: 64
    .language:       OpenCL C
    .language_version:
      - 2
      - 0
    .max_flat_workgroup_size: 128
    .name:           _ZN9rocsparseL32gtsv_interleaved_batch_lu_kernelILj128EfEEviiiPT0_S2_S2_S2_PiS2_
    .private_segment_fixed_size: 0
    .sgpr_count:     28
    .sgpr_spill_count: 0
    .symbol:         _ZN9rocsparseL32gtsv_interleaved_batch_lu_kernelILj128EfEEviiiPT0_S2_S2_S2_PiS2_.kd
    .uniform_work_group_size: 1
    .uses_dynamic_stack: false
    .vgpr_count:     31
    .vgpr_spill_count: 0
    .wavefront_size: 64
  - .args:
      - .offset:         0
        .size:           4
        .value_kind:     by_value
      - .offset:         4
        .size:           4
        .value_kind:     by_value
      - .offset:         8
        .size:           4
        .value_kind:     by_value
      - .actual_access:  read_only
        .address_space:  global
        .offset:         16
        .size:           8
        .value_kind:     global_buffer
      - .address_space:  global
        .offset:         24
        .size:           8
        .value_kind:     global_buffer
      - .address_space:  global
        .offset:         32
        .size:           8
        .value_kind:     global_buffer
      - .address_space:  global
        .offset:         40
        .size:           8
        .value_kind:     global_buffer
      - .address_space:  global
        .offset:         48
        .size:           8
        .value_kind:     global_buffer
    .group_segment_fixed_size: 0
    .kernarg_segment_align: 8
    .kernarg_segment_size: 56
    .language:       OpenCL C
    .language_version:
      - 2
      - 0
    .max_flat_workgroup_size: 128
    .name:           _ZN9rocsparseL32gtsv_interleaved_batch_qr_kernelILj128EfEEviiiPKT0_PS1_S4_S4_S4_
    .private_segment_fixed_size: 0
    .sgpr_count:     24
    .sgpr_spill_count: 0
    .symbol:         _ZN9rocsparseL32gtsv_interleaved_batch_qr_kernelILj128EfEEviiiPKT0_PS1_S4_S4_S4_.kd
    .uniform_work_group_size: 1
    .uses_dynamic_stack: false
    .vgpr_count:     27
    .vgpr_spill_count: 0
    .wavefront_size: 64
  - .args:
      - .offset:         0
        .size:           4
        .value_kind:     by_value
      - .offset:         4
        .size:           4
        .value_kind:     by_value
      - .offset:         8
        .size:           4
        .value_kind:     by_value
      - .actual_access:  read_only
        .address_space:  global
        .offset:         16
        .size:           8
        .value_kind:     global_buffer
      - .actual_access:  read_only
        .address_space:  global
        .offset:         24
        .size:           8
        .value_kind:     global_buffer
      - .actual_access:  read_only
        .address_space:  global
        .offset:         32
        .size:           8
        .value_kind:     global_buffer
      - .address_space:  global
        .offset:         40
        .size:           8
        .value_kind:     global_buffer
      - .address_space:  global
        .offset:         48
        .size:           8
        .value_kind:     global_buffer
      - .address_space:  global
        .offset:         56
        .size:           8
        .value_kind:     global_buffer
    .group_segment_fixed_size: 0
    .kernarg_segment_align: 8
    .kernarg_segment_size: 64
    .language:       OpenCL C
    .language_version:
      - 2
      - 0
    .max_flat_workgroup_size: 128
    .name:           _ZN9rocsparseL36gtsv_interleaved_batch_thomas_kernelILj128EdEEviiiPKT0_S3_S3_PS1_S4_S4_
    .private_segment_fixed_size: 0
    .sgpr_count:     34
    .sgpr_spill_count: 0
    .symbol:         _ZN9rocsparseL36gtsv_interleaved_batch_thomas_kernelILj128EdEEviiiPKT0_S3_S3_PS1_S4_S4_.kd
    .uniform_work_group_size: 1
    .uses_dynamic_stack: false
    .vgpr_count:     38
    .vgpr_spill_count: 0
    .wavefront_size: 64
  - .args:
      - .offset:         0
        .size:           4
        .value_kind:     by_value
      - .offset:         4
        .size:           4
        .value_kind:     by_value
      - .offset:         8
        .size:           4
        .value_kind:     by_value
      - .address_space:  global
        .offset:         16
        .size:           8
        .value_kind:     global_buffer
      - .address_space:  global
        .offset:         24
        .size:           8
        .value_kind:     global_buffer
      - .address_space:  global
        .offset:         32
        .size:           8
        .value_kind:     global_buffer
      - .address_space:  global
        .offset:         40
        .size:           8
        .value_kind:     global_buffer
      - .address_space:  global
        .offset:         48
        .size:           8
        .value_kind:     global_buffer
      - .address_space:  global
        .offset:         56
        .size:           8
        .value_kind:     global_buffer
    .group_segment_fixed_size: 0
    .kernarg_segment_align: 8
    .kernarg_segment_size: 64
    .language:       OpenCL C
    .language_version:
      - 2
      - 0
    .max_flat_workgroup_size: 128
    .name:           _ZN9rocsparseL32gtsv_interleaved_batch_lu_kernelILj128EdEEviiiPT0_S2_S2_S2_PiS2_
    .private_segment_fixed_size: 0
    .sgpr_count:     28
    .sgpr_spill_count: 0
    .symbol:         _ZN9rocsparseL32gtsv_interleaved_batch_lu_kernelILj128EdEEviiiPT0_S2_S2_S2_PiS2_.kd
    .uniform_work_group_size: 1
    .uses_dynamic_stack: false
    .vgpr_count:     29
    .vgpr_spill_count: 0
    .wavefront_size: 64
  - .args:
      - .offset:         0
        .size:           4
        .value_kind:     by_value
      - .offset:         4
        .size:           4
        .value_kind:     by_value
      - .offset:         8
        .size:           4
        .value_kind:     by_value
      - .actual_access:  read_only
        .address_space:  global
        .offset:         16
        .size:           8
        .value_kind:     global_buffer
      - .address_space:  global
        .offset:         24
        .size:           8
        .value_kind:     global_buffer
      - .address_space:  global
        .offset:         32
        .size:           8
        .value_kind:     global_buffer
      - .address_space:  global
        .offset:         40
        .size:           8
        .value_kind:     global_buffer
      - .address_space:  global
        .offset:         48
        .size:           8
        .value_kind:     global_buffer
    .group_segment_fixed_size: 0
    .kernarg_segment_align: 8
    .kernarg_segment_size: 56
    .language:       OpenCL C
    .language_version:
      - 2
      - 0
    .max_flat_workgroup_size: 128
    .name:           _ZN9rocsparseL32gtsv_interleaved_batch_qr_kernelILj128EdEEviiiPKT0_PS1_S4_S4_S4_
    .private_segment_fixed_size: 0
    .sgpr_count:     24
    .sgpr_spill_count: 0
    .symbol:         _ZN9rocsparseL32gtsv_interleaved_batch_qr_kernelILj128EdEEviiiPKT0_PS1_S4_S4_S4_.kd
    .uniform_work_group_size: 1
    .uses_dynamic_stack: false
    .vgpr_count:     38
    .vgpr_spill_count: 0
    .wavefront_size: 64
  - .args:
      - .offset:         0
        .size:           4
        .value_kind:     by_value
      - .offset:         4
        .size:           4
        .value_kind:     by_value
      - .offset:         8
        .size:           4
        .value_kind:     by_value
      - .actual_access:  read_only
        .address_space:  global
        .offset:         16
        .size:           8
        .value_kind:     global_buffer
      - .actual_access:  read_only
        .address_space:  global
        .offset:         24
        .size:           8
        .value_kind:     global_buffer
      - .actual_access:  read_only
        .address_space:  global
        .offset:         32
        .size:           8
        .value_kind:     global_buffer
      - .address_space:  global
        .offset:         40
        .size:           8
        .value_kind:     global_buffer
      - .address_space:  global
        .offset:         48
        .size:           8
        .value_kind:     global_buffer
      - .address_space:  global
        .offset:         56
        .size:           8
        .value_kind:     global_buffer
    .group_segment_fixed_size: 0
    .kernarg_segment_align: 8
    .kernarg_segment_size: 64
    .language:       OpenCL C
    .language_version:
      - 2
      - 0
    .max_flat_workgroup_size: 128
    .name:           _ZN9rocsparseL36gtsv_interleaved_batch_thomas_kernelILj128E21rocsparse_complex_numIfEEEviiiPKT0_S5_S5_PS3_S6_S6_
    .private_segment_fixed_size: 0
    .sgpr_count:     33
    .sgpr_spill_count: 0
    .symbol:         _ZN9rocsparseL36gtsv_interleaved_batch_thomas_kernelILj128E21rocsparse_complex_numIfEEEviiiPKT0_S5_S5_PS3_S6_S6_.kd
    .uniform_work_group_size: 1
    .uses_dynamic_stack: false
    .vgpr_count:     34
    .vgpr_spill_count: 0
    .wavefront_size: 64
  - .args:
      - .offset:         0
        .size:           4
        .value_kind:     by_value
      - .offset:         4
        .size:           4
        .value_kind:     by_value
      - .offset:         8
        .size:           4
        .value_kind:     by_value
      - .address_space:  global
        .offset:         16
        .size:           8
        .value_kind:     global_buffer
      - .address_space:  global
        .offset:         24
        .size:           8
        .value_kind:     global_buffer
      - .address_space:  global
        .offset:         32
        .size:           8
        .value_kind:     global_buffer
      - .address_space:  global
        .offset:         40
        .size:           8
        .value_kind:     global_buffer
      - .address_space:  global
        .offset:         48
        .size:           8
        .value_kind:     global_buffer
      - .address_space:  global
        .offset:         56
        .size:           8
        .value_kind:     global_buffer
    .group_segment_fixed_size: 0
    .kernarg_segment_align: 8
    .kernarg_segment_size: 64
    .language:       OpenCL C
    .language_version:
      - 2
      - 0
    .max_flat_workgroup_size: 128
    .name:           _ZN9rocsparseL32gtsv_interleaved_batch_lu_kernelILj128E21rocsparse_complex_numIfEEEviiiPT0_S4_S4_S4_PiS4_
    .private_segment_fixed_size: 0
    .sgpr_count:     30
    .sgpr_spill_count: 0
    .symbol:         _ZN9rocsparseL32gtsv_interleaved_batch_lu_kernelILj128E21rocsparse_complex_numIfEEEviiiPT0_S4_S4_S4_PiS4_.kd
    .uniform_work_group_size: 1
    .uses_dynamic_stack: false
    .vgpr_count:     30
    .vgpr_spill_count: 0
    .wavefront_size: 64
  - .args:
      - .offset:         0
        .size:           4
        .value_kind:     by_value
      - .offset:         4
        .size:           4
        .value_kind:     by_value
      - .offset:         8
        .size:           4
        .value_kind:     by_value
      - .actual_access:  read_only
        .address_space:  global
        .offset:         16
        .size:           8
        .value_kind:     global_buffer
      - .address_space:  global
        .offset:         24
        .size:           8
        .value_kind:     global_buffer
      - .address_space:  global
        .offset:         32
        .size:           8
        .value_kind:     global_buffer
      - .address_space:  global
        .offset:         40
        .size:           8
        .value_kind:     global_buffer
      - .address_space:  global
        .offset:         48
        .size:           8
        .value_kind:     global_buffer
    .group_segment_fixed_size: 0
    .kernarg_segment_align: 8
    .kernarg_segment_size: 56
    .language:       OpenCL C
    .language_version:
      - 2
      - 0
    .max_flat_workgroup_size: 128
    .name:           _ZN9rocsparseL32gtsv_interleaved_batch_qr_kernelILj128E21rocsparse_complex_numIfEEEviiiPKT0_PS3_S6_S6_S6_
    .private_segment_fixed_size: 0
    .sgpr_count:     26
    .sgpr_spill_count: 0
    .symbol:         _ZN9rocsparseL32gtsv_interleaved_batch_qr_kernelILj128E21rocsparse_complex_numIfEEEviiiPKT0_PS3_S6_S6_S6_.kd
    .uniform_work_group_size: 1
    .uses_dynamic_stack: false
    .vgpr_count:     33
    .vgpr_spill_count: 0
    .wavefront_size: 64
  - .args:
      - .offset:         0
        .size:           4
        .value_kind:     by_value
      - .offset:         4
        .size:           4
        .value_kind:     by_value
      - .offset:         8
        .size:           4
        .value_kind:     by_value
      - .actual_access:  read_only
        .address_space:  global
        .offset:         16
        .size:           8
        .value_kind:     global_buffer
      - .actual_access:  read_only
        .address_space:  global
        .offset:         24
        .size:           8
        .value_kind:     global_buffer
      - .actual_access:  read_only
        .address_space:  global
        .offset:         32
        .size:           8
        .value_kind:     global_buffer
      - .address_space:  global
        .offset:         40
        .size:           8
        .value_kind:     global_buffer
      - .address_space:  global
        .offset:         48
        .size:           8
        .value_kind:     global_buffer
      - .address_space:  global
        .offset:         56
        .size:           8
        .value_kind:     global_buffer
    .group_segment_fixed_size: 0
    .kernarg_segment_align: 8
    .kernarg_segment_size: 64
    .language:       OpenCL C
    .language_version:
      - 2
      - 0
    .max_flat_workgroup_size: 128
    .name:           _ZN9rocsparseL36gtsv_interleaved_batch_thomas_kernelILj128E21rocsparse_complex_numIdEEEviiiPKT0_S5_S5_PS3_S6_S6_
    .private_segment_fixed_size: 0
    .sgpr_count:     32
    .sgpr_spill_count: 0
    .symbol:         _ZN9rocsparseL36gtsv_interleaved_batch_thomas_kernelILj128E21rocsparse_complex_numIdEEEviiiPKT0_S5_S5_PS3_S6_S6_.kd
    .uniform_work_group_size: 1
    .uses_dynamic_stack: false
    .vgpr_count:     37
    .vgpr_spill_count: 0
    .wavefront_size: 64
  - .args:
      - .offset:         0
        .size:           4
        .value_kind:     by_value
      - .offset:         4
        .size:           4
        .value_kind:     by_value
      - .offset:         8
        .size:           4
        .value_kind:     by_value
      - .address_space:  global
        .offset:         16
        .size:           8
        .value_kind:     global_buffer
      - .address_space:  global
        .offset:         24
        .size:           8
        .value_kind:     global_buffer
      - .address_space:  global
        .offset:         32
        .size:           8
        .value_kind:     global_buffer
      - .address_space:  global
        .offset:         40
        .size:           8
        .value_kind:     global_buffer
      - .address_space:  global
        .offset:         48
        .size:           8
        .value_kind:     global_buffer
      - .address_space:  global
        .offset:         56
        .size:           8
        .value_kind:     global_buffer
    .group_segment_fixed_size: 2048
    .kernarg_segment_align: 8
    .kernarg_segment_size: 64
    .language:       OpenCL C
    .language_version:
      - 2
      - 0
    .max_flat_workgroup_size: 128
    .name:           _ZN9rocsparseL32gtsv_interleaved_batch_lu_kernelILj128E21rocsparse_complex_numIdEEEviiiPT0_S4_S4_S4_PiS4_
    .private_segment_fixed_size: 72
    .sgpr_count:     36
    .sgpr_spill_count: 0
    .symbol:         _ZN9rocsparseL32gtsv_interleaved_batch_lu_kernelILj128E21rocsparse_complex_numIdEEEviiiPT0_S4_S4_S4_PiS4_.kd
    .uniform_work_group_size: 1
    .uses_dynamic_stack: false
    .vgpr_count:     47
    .vgpr_spill_count: 0
    .wavefront_size: 64
  - .args:
      - .offset:         0
        .size:           4
        .value_kind:     by_value
      - .offset:         4
        .size:           4
        .value_kind:     by_value
      - .offset:         8
        .size:           4
        .value_kind:     by_value
      - .actual_access:  read_only
        .address_space:  global
        .offset:         16
        .size:           8
        .value_kind:     global_buffer
      - .address_space:  global
        .offset:         24
        .size:           8
        .value_kind:     global_buffer
      - .address_space:  global
        .offset:         32
        .size:           8
        .value_kind:     global_buffer
      - .address_space:  global
        .offset:         40
        .size:           8
        .value_kind:     global_buffer
      - .address_space:  global
        .offset:         48
        .size:           8
        .value_kind:     global_buffer
    .group_segment_fixed_size: 0
    .kernarg_segment_align: 8
    .kernarg_segment_size: 56
    .language:       OpenCL C
    .language_version:
      - 2
      - 0
    .max_flat_workgroup_size: 128
    .name:           _ZN9rocsparseL32gtsv_interleaved_batch_qr_kernelILj128E21rocsparse_complex_numIdEEEviiiPKT0_PS3_S6_S6_S6_
    .private_segment_fixed_size: 0
    .sgpr_count:     30
    .sgpr_spill_count: 0
    .symbol:         _ZN9rocsparseL32gtsv_interleaved_batch_qr_kernelILj128E21rocsparse_complex_numIdEEEviiiPKT0_PS3_S6_S6_S6_.kd
    .uniform_work_group_size: 1
    .uses_dynamic_stack: false
    .vgpr_count:     56
    .vgpr_spill_count: 0
    .wavefront_size: 64
amdhsa.target:   amdgcn-amd-amdhsa--gfx906
amdhsa.version:
  - 1
  - 2
...

	.end_amdgpu_metadata
